;; amdgpu-corpus repo=vllm-project/vllm kind=compiled arch=gfx1100 opt=O3
	.text
	.amdgcn_target "amdgcn-amd-amdhsa--gfx1100"
	.amdhsa_code_object_version 6
	.section	.text._ZN4vllm32rms_norm_static_fp8_quant_kernelIfN3c1013Float8_e4m3fnELi16EEEvPT0_PKT_iS7_PKffii,"axG",@progbits,_ZN4vllm32rms_norm_static_fp8_quant_kernelIfN3c1013Float8_e4m3fnELi16EEEvPT0_PKT_iS7_PKffii,comdat
	.protected	_ZN4vllm32rms_norm_static_fp8_quant_kernelIfN3c1013Float8_e4m3fnELi16EEEvPT0_PKT_iS7_PKffii ; -- Begin function _ZN4vllm32rms_norm_static_fp8_quant_kernelIfN3c1013Float8_e4m3fnELi16EEEvPT0_PKT_iS7_PKffii
	.globl	_ZN4vllm32rms_norm_static_fp8_quant_kernelIfN3c1013Float8_e4m3fnELi16EEEvPT0_PKT_iS7_PKffii
	.p2align	8
	.type	_ZN4vllm32rms_norm_static_fp8_quant_kernelIfN3c1013Float8_e4m3fnELi16EEEvPT0_PKT_iS7_PKffii,@function
_ZN4vllm32rms_norm_static_fp8_quant_kernelIfN3c1013Float8_e4m3fnELi16EEEvPT0_PKT_iS7_PKffii: ; @_ZN4vllm32rms_norm_static_fp8_quant_kernelIfN3c1013Float8_e4m3fnELi16EEEvPT0_PKT_iS7_PKffii
; %bb.0:
	s_clause 0x3
	s_load_b32 s2, s[0:1], 0x10
	s_load_b64 s[4:5], s[0:1], 0x8
	s_load_b32 s8, s[0:1], 0x44
	s_load_b32 s13, s[0:1], 0x30
	s_mov_b32 s3, 0
	s_waitcnt lgkmcnt(0)
	s_mul_i32 s2, s15, s2
	s_delay_alu instid0(SALU_CYCLE_1) | instskip(NEXT) | instid1(SALU_CYCLE_1)
	s_lshl_b64 s[6:7], s[2:3], 2
	s_add_u32 s10, s4, s6
	s_addc_u32 s11, s5, s7
	s_and_b32 s2, s10, 63
	s_and_b32 s12, s8, 0xffff
	s_cmp_lg_u64 s[2:3], 0
	s_cselect_b32 s2, -1, 0
	s_and_b32 s3, s13, 15
	s_delay_alu instid0(SALU_CYCLE_1) | instskip(SKIP_1) | instid1(SALU_CYCLE_1)
	s_cmp_lg_u32 s3, 0
	s_cselect_b32 s3, -1, 0
	s_or_b32 s2, s2, s3
	s_delay_alu instid0(SALU_CYCLE_1)
	s_and_b32 vcc_lo, exec_lo, s2
	s_cbranch_vccz .LBB0_14
; %bb.1:
	s_sub_i32 s2, 0, s10
	v_mov_b32_e32 v4, 0
	s_bfe_u32 s2, s2, 0x40002
	s_mov_b32 s3, exec_lo
	s_min_i32 s8, s2, s13
	s_delay_alu instid0(SALU_CYCLE_1)
	v_cmpx_gt_i32_e64 s8, v0
	s_cbranch_execz .LBB0_5
; %bb.2:
	v_dual_mov_b32 v4, 0 :: v_dual_lshlrev_b32 v1, 2, v0
	s_add_u32 s2, s4, s6
	s_addc_u32 s9, s5, s7
	v_mov_b32_e32 v3, v0
	s_delay_alu instid0(VALU_DEP_2) | instskip(NEXT) | instid1(VALU_DEP_1)
	v_add_co_u32 v1, s2, s2, v1
	v_add_co_ci_u32_e64 v2, null, s9, 0, s2
	s_mov_b32 s9, 0
	s_lshl_b32 s14, s12, 2
.LBB0_3:                                ; =>This Inner Loop Header: Depth=1
	global_load_b32 v5, v[1:2], off
	v_add_nc_u32_e32 v3, s12, v3
	v_add_co_u32 v1, vcc_lo, v1, s14
	v_add_co_ci_u32_e32 v2, vcc_lo, 0, v2, vcc_lo
	s_waitcnt vmcnt(0)
	v_fmac_f32_e32 v4, v5, v5
	v_cmp_le_i32_e64 s2, s8, v3
	s_delay_alu instid0(VALU_DEP_1) | instskip(NEXT) | instid1(SALU_CYCLE_1)
	s_or_b32 s9, s2, s9
	s_and_not1_b32 exec_lo, exec_lo, s9
	s_cbranch_execnz .LBB0_3
; %bb.4:
	s_or_b32 exec_lo, exec_lo, s9
.LBB0_5:
	s_delay_alu instid0(SALU_CYCLE_1)
	s_or_b32 exec_lo, exec_lo, s3
	s_sub_i32 s3, s13, s8
	s_ashr_i32 s9, s8, 31
	s_ashr_i32 s2, s3, 31
	s_mov_b32 s16, exec_lo
	s_lshr_b32 s2, s2, 28
	s_delay_alu instid0(SALU_CYCLE_1) | instskip(NEXT) | instid1(SALU_CYCLE_1)
	s_add_i32 s2, s3, s2
	s_ashr_i32 s14, s2, 4
	s_delay_alu instid0(SALU_CYCLE_1)
	v_cmpx_gt_i32_e64 s14, v0
	s_cbranch_execz .LBB0_9
; %bb.6:
	v_lshlrev_b32_e32 v1, 6, v0
	s_lshl_b64 s[18:19], s[8:9], 2
	s_add_u32 s2, s4, s6
	s_addc_u32 s17, s5, s7
	s_add_u32 s2, s2, s18
	s_addc_u32 s17, s17, s19
	v_add_co_u32 v1, s2, s2, v1
	s_delay_alu instid0(VALU_DEP_1)
	v_add_co_ci_u32_e64 v2, null, s17, 0, s2
	v_mov_b32_e32 v3, v0
	s_mov_b32 s17, 0
	s_lshl_b32 s18, s12, 6
	s_set_inst_prefetch_distance 0x1
	.p2align	6
.LBB0_7:                                ; =>This Inner Loop Header: Depth=1
	s_clause 0x3
	global_load_b128 v[5:8], v[1:2], off
	global_load_b128 v[9:12], v[1:2], off offset:16
	global_load_b128 v[13:16], v[1:2], off offset:32
	;; [unrolled: 1-line block ×3, first 2 shown]
	v_add_co_u32 v1, vcc_lo, v1, s18
	v_add_co_ci_u32_e32 v2, vcc_lo, 0, v2, vcc_lo
	v_add_nc_u32_e32 v3, s12, v3
	s_delay_alu instid0(VALU_DEP_1) | instskip(NEXT) | instid1(VALU_DEP_1)
	v_cmp_le_i32_e64 s2, s14, v3
	s_or_b32 s17, s2, s17
	s_waitcnt vmcnt(3)
	v_fmac_f32_e32 v4, v5, v5
	s_delay_alu instid0(VALU_DEP_1) | instskip(NEXT) | instid1(VALU_DEP_1)
	v_fmac_f32_e32 v4, v6, v6
	v_fmac_f32_e32 v4, v7, v7
	s_delay_alu instid0(VALU_DEP_1) | instskip(SKIP_1) | instid1(VALU_DEP_1)
	v_fmac_f32_e32 v4, v8, v8
	s_waitcnt vmcnt(2)
	v_fmac_f32_e32 v4, v9, v9
	s_delay_alu instid0(VALU_DEP_1) | instskip(NEXT) | instid1(VALU_DEP_1)
	v_fmac_f32_e32 v4, v10, v10
	v_fmac_f32_e32 v4, v11, v11
	s_delay_alu instid0(VALU_DEP_1) | instskip(SKIP_1) | instid1(VALU_DEP_1)
	v_fmac_f32_e32 v4, v12, v12
	;; [unrolled: 7-line block ×3, first 2 shown]
	s_waitcnt vmcnt(0)
	v_fmac_f32_e32 v4, v17, v17
	s_delay_alu instid0(VALU_DEP_1) | instskip(NEXT) | instid1(VALU_DEP_1)
	v_fmac_f32_e32 v4, v18, v18
	v_fmac_f32_e32 v4, v19, v19
	s_delay_alu instid0(VALU_DEP_1)
	v_fmac_f32_e32 v4, v20, v20
	s_and_not1_b32 exec_lo, exec_lo, s17
	s_cbranch_execnz .LBB0_7
; %bb.8:
	s_set_inst_prefetch_distance 0x2
	s_or_b32 exec_lo, exec_lo, s17
.LBB0_9:
	s_delay_alu instid0(SALU_CYCLE_1) | instskip(SKIP_2) | instid1(VALU_DEP_1)
	s_or_b32 exec_lo, exec_lo, s16
	v_lshl_add_u32 v1, s14, 4, v0
	s_mov_b32 s14, exec_lo
	v_cmpx_gt_i32_e64 s3, v1
	s_cbranch_execz .LBB0_13
; %bb.10:
	v_ashrrev_i32_e32 v2, 31, v1
	s_lshl_b64 s[8:9], s[8:9], 2
	s_add_u32 s2, s4, s6
	s_addc_u32 s16, s5, s7
	s_add_u32 s2, s2, s8
	v_lshlrev_b64 v[2:3], 2, v[1:2]
	s_addc_u32 s8, s16, s9
	s_lshl_b32 s9, s12, 2
	s_delay_alu instid0(VALU_DEP_1) | instskip(NEXT) | instid1(VALU_DEP_2)
	v_add_co_u32 v2, vcc_lo, s2, v2
	v_add_co_ci_u32_e32 v3, vcc_lo, s8, v3, vcc_lo
	s_mov_b32 s8, 0
.LBB0_11:                               ; =>This Inner Loop Header: Depth=1
	global_load_b32 v5, v[2:3], off
	v_add_nc_u32_e32 v1, s12, v1
	v_add_co_u32 v2, vcc_lo, v2, s9
	v_add_co_ci_u32_e32 v3, vcc_lo, 0, v3, vcc_lo
	s_delay_alu instid0(VALU_DEP_3) | instskip(NEXT) | instid1(VALU_DEP_1)
	v_cmp_le_i32_e64 s2, s3, v1
	s_or_b32 s8, s2, s8
	s_waitcnt vmcnt(0)
	v_fmac_f32_e32 v4, v5, v5
	s_and_not1_b32 exec_lo, exec_lo, s8
	s_cbranch_execnz .LBB0_11
; %bb.12:
	s_or_b32 exec_lo, exec_lo, s8
.LBB0_13:
	s_delay_alu instid0(SALU_CYCLE_1)
	s_or_b32 exec_lo, exec_lo, s14
	s_branch .LBB0_20
.LBB0_14:
                                        ; implicit-def: $vgpr4
	s_cbranch_execz .LBB0_20
; %bb.15:
	v_mov_b32_e32 v4, 0
	s_ashr_i32 s8, s13, 4
	s_mov_b32 s3, exec_lo
	v_cmpx_gt_i32_e64 s8, v0
	s_cbranch_execz .LBB0_19
; %bb.16:
	v_dual_mov_b32 v4, 0 :: v_dual_lshlrev_b32 v1, 6, v0
	s_add_u32 s2, s4, s6
	s_addc_u32 s4, s5, s7
	v_mov_b32_e32 v3, v0
	s_delay_alu instid0(VALU_DEP_2) | instskip(NEXT) | instid1(VALU_DEP_1)
	v_add_co_u32 v1, s2, s2, v1
	v_add_co_ci_u32_e64 v2, null, s4, 0, s2
	s_mov_b32 s4, 0
	s_lshl_b32 s5, s12, 6
	s_set_inst_prefetch_distance 0x1
	.p2align	6
.LBB0_17:                               ; =>This Inner Loop Header: Depth=1
	s_clause 0x3
	global_load_b128 v[5:8], v[1:2], off
	global_load_b128 v[9:12], v[1:2], off offset:16
	global_load_b128 v[13:16], v[1:2], off offset:32
	;; [unrolled: 1-line block ×3, first 2 shown]
	v_add_co_u32 v1, vcc_lo, v1, s5
	v_add_co_ci_u32_e32 v2, vcc_lo, 0, v2, vcc_lo
	v_add_nc_u32_e32 v3, s12, v3
	s_delay_alu instid0(VALU_DEP_1) | instskip(NEXT) | instid1(VALU_DEP_1)
	v_cmp_le_i32_e64 s2, s8, v3
	s_or_b32 s4, s2, s4
	s_waitcnt vmcnt(3)
	v_fmac_f32_e32 v4, v5, v5
	s_delay_alu instid0(VALU_DEP_1) | instskip(NEXT) | instid1(VALU_DEP_1)
	v_fmac_f32_e32 v4, v6, v6
	v_fmac_f32_e32 v4, v7, v7
	s_delay_alu instid0(VALU_DEP_1) | instskip(SKIP_1) | instid1(VALU_DEP_1)
	v_fmac_f32_e32 v4, v8, v8
	s_waitcnt vmcnt(2)
	v_fmac_f32_e32 v4, v9, v9
	s_delay_alu instid0(VALU_DEP_1) | instskip(NEXT) | instid1(VALU_DEP_1)
	v_fmac_f32_e32 v4, v10, v10
	v_fmac_f32_e32 v4, v11, v11
	s_delay_alu instid0(VALU_DEP_1) | instskip(SKIP_1) | instid1(VALU_DEP_1)
	v_fmac_f32_e32 v4, v12, v12
	s_waitcnt vmcnt(1)
	v_fmac_f32_e32 v4, v13, v13
	s_delay_alu instid0(VALU_DEP_1) | instskip(NEXT) | instid1(VALU_DEP_1)
	v_fmac_f32_e32 v4, v14, v14
	v_fmac_f32_e32 v4, v15, v15
	s_delay_alu instid0(VALU_DEP_1) | instskip(SKIP_1) | instid1(VALU_DEP_1)
	v_fmac_f32_e32 v4, v16, v16
	s_waitcnt vmcnt(0)
	v_fmac_f32_e32 v4, v17, v17
	s_delay_alu instid0(VALU_DEP_1) | instskip(NEXT) | instid1(VALU_DEP_1)
	v_fmac_f32_e32 v4, v18, v18
	v_fmac_f32_e32 v4, v19, v19
	s_delay_alu instid0(VALU_DEP_1)
	v_fmac_f32_e32 v4, v20, v20
	s_and_not1_b32 exec_lo, exec_lo, s4
	s_cbranch_execnz .LBB0_17
; %bb.18:
	s_set_inst_prefetch_distance 0x2
	s_or_b32 exec_lo, exec_lo, s4
.LBB0_19:
	s_delay_alu instid0(SALU_CYCLE_1)
	s_or_b32 exec_lo, exec_lo, s3
.LBB0_20:
	v_mbcnt_lo_u32_b32 v1, -1, 0
	v_and_b32_e32 v3, 0x3e0, v0
	s_mov_b32 s2, exec_lo
	s_delay_alu instid0(VALU_DEP_2) | instskip(NEXT) | instid1(VALU_DEP_2)
	v_cmp_ne_u32_e32 vcc_lo, 31, v1
	v_sub_nc_u32_e64 v12, s12, v3 clamp
	v_add_nc_u32_e32 v3, 1, v1
	v_add_co_ci_u32_e32 v2, vcc_lo, 0, v1, vcc_lo
	v_cmp_gt_u32_e32 vcc_lo, 30, v1
	s_delay_alu instid0(VALU_DEP_2)
	v_lshlrev_b32_e32 v2, 2, v2
	v_cndmask_b32_e64 v6, 0, 1, vcc_lo
	v_cmp_lt_u32_e32 vcc_lo, v3, v12
	ds_bpermute_b32 v5, v2, v4
	s_waitcnt lgkmcnt(0)
	v_dual_add_f32 v7, v4, v5 :: v_dual_lshlrev_b32 v6, 1, v6
	s_delay_alu instid0(VALU_DEP_1) | instskip(NEXT) | instid1(VALU_DEP_2)
	v_cndmask_b32_e32 v7, v4, v7, vcc_lo
	v_add_lshl_u32 v5, v6, v1, 2
	v_cmp_gt_u32_e32 vcc_lo, 28, v1
	ds_bpermute_b32 v6, v5, v7
	v_cndmask_b32_e64 v4, 0, 1, vcc_lo
	s_delay_alu instid0(VALU_DEP_1) | instskip(SKIP_1) | instid1(VALU_DEP_1)
	v_lshlrev_b32_e32 v8, 2, v4
	v_add_nc_u32_e32 v4, 2, v1
	v_cmp_lt_u32_e32 vcc_lo, v4, v12
	s_waitcnt lgkmcnt(0)
	v_add_f32_e32 v9, v7, v6
	v_add_lshl_u32 v6, v8, v1, 2
	s_delay_alu instid0(VALU_DEP_2) | instskip(SKIP_2) | instid1(VALU_DEP_1)
	v_cndmask_b32_e32 v9, v7, v9, vcc_lo
	v_cmp_gt_u32_e32 vcc_lo, 24, v1
	v_cndmask_b32_e64 v7, 0, 1, vcc_lo
	v_lshlrev_b32_e32 v10, 3, v7
	ds_bpermute_b32 v8, v6, v9
	v_add_nc_u32_e32 v7, 4, v1
	s_delay_alu instid0(VALU_DEP_1) | instskip(SKIP_3) | instid1(VALU_DEP_2)
	v_cmp_lt_u32_e32 vcc_lo, v7, v12
	s_waitcnt lgkmcnt(0)
	v_add_f32_e32 v11, v9, v8
	v_add_lshl_u32 v8, v10, v1, 2
	v_cndmask_b32_e32 v11, v9, v11, vcc_lo
	v_cmp_gt_u32_e32 vcc_lo, 16, v1
	ds_bpermute_b32 v10, v8, v11
	v_cndmask_b32_e64 v9, 0, 1, vcc_lo
	s_delay_alu instid0(VALU_DEP_1) | instskip(SKIP_1) | instid1(VALU_DEP_1)
	v_lshlrev_b32_e32 v13, 4, v9
	v_add_nc_u32_e32 v9, 8, v1
	v_cmp_lt_u32_e32 vcc_lo, v9, v12
	s_waitcnt lgkmcnt(0)
	v_add_f32_e32 v14, v11, v10
	v_add_lshl_u32 v10, v13, v1, 2
	s_delay_alu instid0(VALU_DEP_2)
	v_cndmask_b32_e32 v13, v11, v14, vcc_lo
	v_add_nc_u32_e32 v11, 16, v1
	ds_bpermute_b32 v14, v10, v13
	v_cmp_lt_u32_e32 vcc_lo, v11, v12
	s_waitcnt lgkmcnt(0)
	v_add_f32_e32 v14, v13, v14
	s_delay_alu instid0(VALU_DEP_1)
	v_cndmask_b32_e32 v12, v13, v14, vcc_lo
	v_cmpx_eq_u32_e32 0, v1
	s_cbranch_execz .LBB0_22
; %bb.21:
	v_lshrrev_b32_e32 v13, 3, v0
	s_delay_alu instid0(VALU_DEP_1)
	v_and_b32_e32 v13, 0x7c, v13
	ds_store_b32 v13, v12
.LBB0_22:
	s_or_b32 exec_lo, exec_lo, s2
	s_delay_alu instid0(SALU_CYCLE_1)
	s_mov_b32 s2, exec_lo
	s_waitcnt lgkmcnt(0)
	s_barrier
	buffer_gl0_inv
	v_cmpx_gt_u32_e32 32, v0
	s_cbranch_execz .LBB0_24
; %bb.23:
	v_lshlrev_b32_e32 v1, 2, v1
	s_add_i32 s3, s12, 31
	s_delay_alu instid0(SALU_CYCLE_1) | instskip(NEXT) | instid1(SALU_CYCLE_1)
	s_lshr_b32 s3, s3, 5
	v_cmp_gt_u32_e32 vcc_lo, s3, v3
	ds_load_b32 v1, v1
	s_waitcnt lgkmcnt(0)
	ds_bpermute_b32 v2, v2, v1
	s_waitcnt lgkmcnt(0)
	v_add_f32_e32 v2, v1, v2
	s_delay_alu instid0(VALU_DEP_1) | instskip(SKIP_4) | instid1(VALU_DEP_1)
	v_cndmask_b32_e32 v1, v1, v2, vcc_lo
	v_cmp_gt_u32_e32 vcc_lo, s3, v4
	ds_bpermute_b32 v2, v5, v1
	s_waitcnt lgkmcnt(0)
	v_add_f32_e32 v2, v1, v2
	v_cndmask_b32_e32 v1, v1, v2, vcc_lo
	v_cmp_gt_u32_e32 vcc_lo, s3, v7
	ds_bpermute_b32 v2, v6, v1
	s_waitcnt lgkmcnt(0)
	v_add_f32_e32 v2, v1, v2
	s_delay_alu instid0(VALU_DEP_1) | instskip(SKIP_4) | instid1(VALU_DEP_1)
	v_cndmask_b32_e32 v1, v1, v2, vcc_lo
	v_cmp_gt_u32_e32 vcc_lo, s3, v9
	ds_bpermute_b32 v2, v8, v1
	s_waitcnt lgkmcnt(0)
	v_add_f32_e32 v2, v1, v2
	v_cndmask_b32_e32 v1, v1, v2, vcc_lo
	v_cmp_gt_u32_e32 vcc_lo, s3, v11
	ds_bpermute_b32 v2, v10, v1
	s_waitcnt lgkmcnt(0)
	v_add_f32_e32 v2, v1, v2
	s_delay_alu instid0(VALU_DEP_1)
	v_cndmask_b32_e32 v12, v1, v2, vcc_lo
.LBB0_24:
	s_or_b32 exec_lo, exec_lo, s2
	s_delay_alu instid0(SALU_CYCLE_1)
	s_mov_b32 s2, exec_lo
	v_cmpx_eq_u32_e32 0, v0
	s_cbranch_execz .LBB0_26
; %bb.25:
	v_cvt_f32_i32_e32 v1, s13
	s_load_b32 s3, s[0:1], 0x28
	s_delay_alu instid0(VALU_DEP_1) | instskip(SKIP_1) | instid1(VALU_DEP_2)
	v_div_scale_f32 v2, null, v1, v1, v12
	v_div_scale_f32 v5, vcc_lo, v12, v1, v12
	v_rcp_f32_e32 v3, v2
	s_waitcnt_depctr 0xfff
	v_fma_f32 v4, -v2, v3, 1.0
	s_delay_alu instid0(VALU_DEP_1) | instskip(NEXT) | instid1(VALU_DEP_1)
	v_fmac_f32_e32 v3, v4, v3
	v_mul_f32_e32 v4, v5, v3
	s_delay_alu instid0(VALU_DEP_1) | instskip(NEXT) | instid1(VALU_DEP_1)
	v_fma_f32 v6, -v2, v4, v5
	v_fmac_f32_e32 v4, v6, v3
	s_delay_alu instid0(VALU_DEP_1) | instskip(NEXT) | instid1(VALU_DEP_1)
	v_fma_f32 v2, -v2, v4, v5
	v_div_fmas_f32 v2, v2, v3, v4
	s_delay_alu instid0(VALU_DEP_1) | instskip(SKIP_1) | instid1(VALU_DEP_1)
	v_div_fixup_f32 v1, v2, v1, v12
	s_waitcnt lgkmcnt(0)
	v_add_f32_e32 v1, s3, v1
	s_delay_alu instid0(VALU_DEP_1) | instskip(SKIP_1) | instid1(VALU_DEP_2)
	v_mul_f32_e32 v2, 0x4b800000, v1
	v_cmp_gt_f32_e32 vcc_lo, 0x800000, v1
	v_cndmask_b32_e32 v1, v1, v2, vcc_lo
	s_delay_alu instid0(VALU_DEP_1) | instskip(SKIP_2) | instid1(VALU_DEP_1)
	v_rsq_f32_e32 v1, v1
	s_waitcnt_depctr 0xfff
	v_mul_f32_e32 v2, 0x45800000, v1
	v_dual_cndmask_b32 v1, v1, v2 :: v_dual_mov_b32 v2, 0
	ds_store_b32 v2, v1 offset:128
.LBB0_26:
	s_or_b32 exec_lo, exec_lo, s2
	s_ashr_i32 s2, s13, 31
	s_waitcnt lgkmcnt(0)
	s_lshr_b32 s2, s2, 28
	s_barrier
	s_add_i32 s2, s13, s2
	buffer_gl0_inv
	s_ashr_i32 s8, s2, 4
	s_mov_b32 s2, exec_lo
	v_cmpx_gt_i32_e64 s8, v0
	s_cbranch_execz .LBB0_285
; %bb.27:
	s_clause 0x1
	s_load_b128 s[4:7], s[0:1], 0x18
	s_load_b64 s[2:3], s[0:1], 0x0
	s_mul_i32 s15, s15, s13
	s_lshl_b32 s9, s12, 6
	v_lshl_add_u32 v38, v0, 4, s15
	s_mov_b32 s13, 0x43e00000
	v_mov_b32_e32 v34, 0
	v_lshlrev_b32_e32 v40, 6, v0
	ds_load_b32 v37, v34 offset:128
	s_waitcnt lgkmcnt(0)
	s_load_b32 s7, s[6:7], 0x0
	s_lshl_b32 s6, s12, 4
	s_waitcnt lgkmcnt(0)
	v_div_scale_f32 v1, null, s7, s7, 1.0
	v_div_scale_f32 v4, vcc_lo, 1.0, s7, 1.0
	s_delay_alu instid0(VALU_DEP_2) | instskip(SKIP_2) | instid1(VALU_DEP_1)
	v_rcp_f32_e32 v2, v1
	s_waitcnt_depctr 0xfff
	v_fma_f32 v3, -v1, v2, 1.0
	v_fmac_f32_e32 v2, v3, v2
	s_delay_alu instid0(VALU_DEP_1) | instskip(NEXT) | instid1(VALU_DEP_1)
	v_mul_f32_e32 v3, v4, v2
	v_fma_f32 v5, -v1, v3, v4
	s_delay_alu instid0(VALU_DEP_1) | instskip(NEXT) | instid1(VALU_DEP_1)
	v_fmac_f32_e32 v3, v5, v2
	v_fma_f32 v1, -v1, v3, v4
	s_delay_alu instid0(VALU_DEP_1) | instskip(NEXT) | instid1(VALU_DEP_1)
	v_div_fmas_f32 v1, v1, v2, v3
	v_div_fixup_f32 v39, v1, s7, 1.0
	s_mov_b32 s7, 0
	s_branch .LBB0_29
.LBB0_28:                               ;   in Loop: Header=BB0_29 Depth=1
	s_or_b32 exec_lo, exec_lo, s0
	v_add_nc_u32_e32 v0, s12, v0
	s_add_u32 s4, s4, s9
	v_add_nc_u32_e32 v1, 15, v38
	v_add_nc_u32_e32 v38, s6, v38
	s_addc_u32 s5, s5, 0
	v_cmp_le_i32_e32 vcc_lo, s8, v0
	s_add_u32 s10, s10, s9
	s_addc_u32 s11, s11, 0
	global_store_b8 v1, v2, s[2:3]
	s_or_b32 s7, vcc_lo, s7
	s_delay_alu instid0(SALU_CYCLE_1)
	s_and_not1_b32 exec_lo, exec_lo, s7
	s_cbranch_execz .LBB0_285
.LBB0_29:                               ; =>This Inner Loop Header: Depth=1
	v_add_co_u32 v5, s0, s10, v40
	s_delay_alu instid0(VALU_DEP_1) | instskip(SKIP_1) | instid1(VALU_DEP_1)
	v_add_co_ci_u32_e64 v6, null, s11, 0, s0
	v_add_co_u32 v13, s0, s4, v40
	v_add_co_ci_u32_e64 v14, null, s5, 0, s0
	global_load_b128 v[25:28], v[5:6], off
	global_load_b128 v[29:32], v[13:14], off
	global_load_b128 v[17:20], v[5:6], off offset:16
	global_load_b128 v[21:24], v[13:14], off offset:16
	s_clause 0x1
	global_load_b128 v[1:4], v[5:6], off offset:48
	global_load_b128 v[9:12], v[5:6], off offset:32
	s_clause 0x1
	global_load_b128 v[5:8], v[13:14], off offset:48
	global_load_b128 v[13:16], v[13:14], off offset:32
	s_mov_b32 s0, exec_lo
	s_waitcnt vmcnt(7)
	v_dual_mov_b32 v42, v34 :: v_dual_mul_f32 v25, v25, v37
	s_waitcnt vmcnt(6)
	s_delay_alu instid0(VALU_DEP_1) | instskip(NEXT) | instid1(VALU_DEP_1)
	v_mul_f32_e32 v25, v25, v29
	v_mul_f32_e32 v25, v39, v25
	s_delay_alu instid0(VALU_DEP_1) | instskip(NEXT) | instid1(VALU_DEP_1)
	v_minmax_f32 v29, v25, s13, 0xc3e00000
	v_lshrrev_b32_e32 v35, 24, v29
	v_and_b32_e32 v41, 0x7f800000, v29
	v_and_b32_e32 v33, 0x7fffff, v29
	s_delay_alu instid0(VALU_DEP_3) | instskip(NEXT) | instid1(VALU_DEP_1)
	v_and_b32_e32 v25, 0x80, v35
	v_or_b32_e32 v36, 0x7e, v25
	s_delay_alu instid0(VALU_DEP_4)
	v_cmpx_ne_u64_e32 0x7f800000, v[41:42]
	s_xor_b32 s14, exec_lo, s0
	s_cbranch_execz .LBB0_43
; %bb.30:                               ;   in Loop: Header=BB0_29 Depth=1
	v_dual_mov_b32 v42, v34 :: v_dual_and_b32 v41, 0x7fffffff, v29
	s_mov_b32 s0, exec_lo
	s_delay_alu instid0(VALU_DEP_1)
	v_cmpx_gt_u64_e32 0x43e00001, v[41:42]
	s_xor_b32 s15, exec_lo, s0
	s_cbranch_execz .LBB0_42
; %bb.31:                               ;   in Loop: Header=BB0_29 Depth=1
	v_mov_b32_e32 v36, 0
	s_mov_b32 s16, exec_lo
	v_cmpx_ne_u32_e32 0, v29
	s_cbranch_execz .LBB0_41
; %bb.32:                               ;   in Loop: Header=BB0_29 Depth=1
	v_bfe_u32 v29, v29, 23, 8
	s_delay_alu instid0(VALU_DEP_1) | instskip(SKIP_2) | instid1(VALU_DEP_3)
	v_sub_nc_u32_e64 v35, 0x79, v29 clamp
	v_cmp_eq_u32_e32 vcc_lo, 0, v29
	v_add_nc_u32_e32 v29, 0xffffff88, v29
	v_cndmask_b32_e64 v45, v35, 0x78, vcc_lo
	v_or_b32_e32 v35, 0x800000, v33
	s_delay_alu instid0(VALU_DEP_3) | instskip(NEXT) | instid1(VALU_DEP_3)
	v_cndmask_b32_e64 v29, v29, 0xffffff89, vcc_lo
	v_add_nc_u32_e32 v36, 20, v45
	s_delay_alu instid0(VALU_DEP_3) | instskip(SKIP_1) | instid1(VALU_DEP_3)
	v_cndmask_b32_e32 v33, v35, v33, vcc_lo
	v_add_nc_u32_e32 v41, 19, v45
	v_lshlrev_b64 v[35:36], v36, -1
	s_delay_alu instid0(VALU_DEP_1) | instskip(NEXT) | instid1(VALU_DEP_2)
	v_not_b32_e32 v42, v36
	v_not_b32_e32 v46, v35
	s_delay_alu instid0(VALU_DEP_4) | instskip(NEXT) | instid1(VALU_DEP_3)
	v_lshlrev_b64 v[35:36], v41, 1
	v_and_b32_e32 v42, 0, v42
	v_lshrrev_b64 v[43:44], v45, v[33:34]
	s_delay_alu instid0(VALU_DEP_4) | instskip(NEXT) | instid1(VALU_DEP_1)
	v_and_b32_e32 v41, v33, v46
	v_cmp_eq_u64_e64 s0, v[41:42], v[35:36]
	s_delay_alu instid0(VALU_DEP_3) | instskip(NEXT) | instid1(VALU_DEP_1)
	v_and_b32_e32 v33, 0x100000, v43
	v_cmp_eq_u64_e64 s1, 0, v[33:34]
	v_lshrrev_b32_e32 v33, 23, v43
	s_delay_alu instid0(VALU_DEP_1) | instskip(NEXT) | instid1(VALU_DEP_3)
	v_add3_u32 v41, v29, v45, v33
	s_and_b32 vcc_lo, s1, s0
	s_mov_b32 s0, exec_lo
	v_subrev_co_ci_u32_e32 v35, vcc_lo, 0, v43, vcc_lo
	s_delay_alu instid0(VALU_DEP_2) | instskip(NEXT) | instid1(VALU_DEP_2)
	v_add_nc_u32_e32 v42, -1, v41
	v_and_b32_e32 v29, 0xfffff, v35
	s_delay_alu instid0(VALU_DEP_1) | instskip(SKIP_1) | instid1(VALU_DEP_4)
	v_add_co_u32 v35, vcc_lo, v29, v43
	v_add_co_ci_u32_e32 v36, vcc_lo, 0, v44, vcc_lo
                                        ; implicit-def: $vgpr29
	v_cmpx_ne_u32_e32 0, v42
	s_xor_b32 s0, exec_lo, s0
; %bb.33:                               ;   in Loop: Header=BB0_29 Depth=1
	s_delay_alu instid0(VALU_DEP_3) | instskip(SKIP_1) | instid1(VALU_DEP_2)
	v_and_b32_e32 v33, 0x1000000, v35
	v_bfe_u32 v29, v35, 24, 1
	v_cmp_eq_u64_e32 vcc_lo, 0, v[33:34]
	s_delay_alu instid0(VALU_DEP_2)
	v_lshrrev_b64 v[35:36], v29, v[35:36]
	v_cndmask_b32_e32 v29, v41, v42, vcc_lo
; %bb.34:                               ;   in Loop: Header=BB0_29 Depth=1
	s_and_not1_saveexec_b32 s0, s0
; %bb.35:                               ;   in Loop: Header=BB0_29 Depth=1
	s_delay_alu instid0(VALU_DEP_2)
	v_bfe_u32 v29, v35, 23, 1
; %bb.36:                               ;   in Loop: Header=BB0_29 Depth=1
	s_or_b32 exec_lo, exec_lo, s0
	s_delay_alu instid0(VALU_DEP_3) | instskip(NEXT) | instid1(VALU_DEP_2)
	v_lshrrev_b64 v[35:36], 20, v[35:36]
	v_cmp_gt_i32_e32 vcc_lo, 16, v29
	v_cmp_ne_u32_e64 s0, 0, v29
	s_delay_alu instid0(VALU_DEP_3) | instskip(NEXT) | instid1(VALU_DEP_1)
	v_dual_cndmask_b32 v36, 0, v36 :: v_dual_cndmask_b32 v35, 7, v35
	v_cmp_ne_u64_e32 vcc_lo, 0, v[35:36]
                                        ; implicit-def: $vgpr36
	s_delay_alu instid0(VALU_DEP_3) | instskip(NEXT) | instid1(SALU_CYCLE_1)
	s_or_b32 s0, s0, vcc_lo
	s_and_saveexec_b32 s1, s0
	s_delay_alu instid0(SALU_CYCLE_1)
	s_xor_b32 s0, exec_lo, s1
; %bb.37:                               ;   in Loop: Header=BB0_29 Depth=1
	v_min_i32_e32 v29, 15, v29
	s_delay_alu instid0(VALU_DEP_1) | instskip(NEXT) | instid1(VALU_DEP_1)
	v_lshl_or_b32 v25, v29, 3, v25
	v_and_or_b32 v36, v35, 7, v25
                                        ; implicit-def: $vgpr25
; %bb.38:                               ;   in Loop: Header=BB0_29 Depth=1
	s_and_not1_saveexec_b32 s0, s0
; %bb.39:                               ;   in Loop: Header=BB0_29 Depth=1
	v_mov_b32_e32 v36, v25
; %bb.40:                               ;   in Loop: Header=BB0_29 Depth=1
	s_or_b32 exec_lo, exec_lo, s0
.LBB0_41:                               ;   in Loop: Header=BB0_29 Depth=1
	s_delay_alu instid0(SALU_CYCLE_1)
	s_or_b32 exec_lo, exec_lo, s16
.LBB0_42:                               ;   in Loop: Header=BB0_29 Depth=1
	s_and_not1_saveexec_b32 s0, s15
	s_delay_alu instid0(SALU_CYCLE_1)
	s_or_b32 exec_lo, exec_lo, s0
                                        ; implicit-def: $vgpr35
.LBB0_43:                               ;   in Loop: Header=BB0_29 Depth=1
	s_and_not1_saveexec_b32 s0, s14
; %bb.44:                               ;   in Loop: Header=BB0_29 Depth=1
	v_cmp_eq_u64_e32 vcc_lo, 0, v[33:34]
	v_or_b32_e32 v25, 0x7f, v35
	s_delay_alu instid0(VALU_DEP_1)
	v_cndmask_b32_e32 v36, v25, v36, vcc_lo
; %bb.45:                               ;   in Loop: Header=BB0_29 Depth=1
	s_or_b32 exec_lo, exec_lo, s0
	v_mul_f32_e32 v25, v26, v37
	global_store_b8 v38, v36, s[2:3]
	s_mov_b32 s0, exec_lo
	v_dual_mov_b32 v42, v34 :: v_dual_mul_f32 v25, v25, v30
	s_delay_alu instid0(VALU_DEP_1) | instskip(NEXT) | instid1(VALU_DEP_1)
	v_mul_f32_e32 v25, v39, v25
	v_minmax_f32 v25, v25, s13, 0xc3e00000
	s_delay_alu instid0(VALU_DEP_1) | instskip(SKIP_2) | instid1(VALU_DEP_3)
	v_lshrrev_b32_e32 v30, 24, v25
	v_and_b32_e32 v41, 0x7f800000, v25
	v_and_b32_e32 v33, 0x7fffff, v25
	;; [unrolled: 1-line block ×3, first 2 shown]
	s_delay_alu instid0(VALU_DEP_1) | instskip(NEXT) | instid1(VALU_DEP_4)
	v_or_b32_e32 v26, 0x7e, v29
	v_cmpx_ne_u64_e32 0x7f800000, v[41:42]
	s_xor_b32 s14, exec_lo, s0
	s_cbranch_execz .LBB0_59
; %bb.46:                               ;   in Loop: Header=BB0_29 Depth=1
	v_dual_mov_b32 v36, v34 :: v_dual_and_b32 v35, 0x7fffffff, v25
	s_mov_b32 s0, exec_lo
	s_delay_alu instid0(VALU_DEP_1)
	v_cmpx_gt_u64_e32 0x43e00001, v[35:36]
	s_xor_b32 s15, exec_lo, s0
	s_cbranch_execz .LBB0_58
; %bb.47:                               ;   in Loop: Header=BB0_29 Depth=1
	v_mov_b32_e32 v26, 0
	s_mov_b32 s16, exec_lo
	v_cmpx_ne_u32_e32 0, v25
	s_cbranch_execz .LBB0_57
; %bb.48:                               ;   in Loop: Header=BB0_29 Depth=1
	v_bfe_u32 v30, v25, 23, 8
	s_delay_alu instid0(VALU_DEP_1) | instskip(SKIP_2) | instid1(VALU_DEP_3)
	v_sub_nc_u32_e64 v25, 0x79, v30 clamp
	v_cmp_eq_u32_e32 vcc_lo, 0, v30
	v_add_nc_u32_e32 v30, 0xffffff88, v30
	v_cndmask_b32_e64 v43, v25, 0x78, vcc_lo
	v_or_b32_e32 v25, 0x800000, v33
	s_delay_alu instid0(VALU_DEP_1) | instskip(SKIP_1) | instid1(VALU_DEP_2)
	v_dual_cndmask_b32 v33, v25, v33 :: v_dual_add_nc_u32 v26, 20, v43
	v_add_nc_u32_e32 v35, 19, v43
	v_lshlrev_b64 v[25:26], v26, -1
	s_delay_alu instid0(VALU_DEP_3) | instskip(NEXT) | instid1(VALU_DEP_2)
	v_lshrrev_b64 v[41:42], v43, v[33:34]
	v_not_b32_e32 v36, v26
	s_delay_alu instid0(VALU_DEP_3) | instskip(SKIP_1) | instid1(VALU_DEP_3)
	v_not_b32_e32 v44, v25
	v_lshlrev_b64 v[25:26], v35, 1
	v_and_b32_e32 v36, 0, v36
	s_delay_alu instid0(VALU_DEP_3) | instskip(SKIP_1) | instid1(VALU_DEP_2)
	v_and_b32_e32 v35, v33, v44
	v_and_b32_e32 v33, 0x100000, v41
	v_cmp_eq_u64_e64 s0, v[35:36], v[25:26]
	s_delay_alu instid0(VALU_DEP_2) | instskip(SKIP_2) | instid1(VALU_DEP_3)
	v_cmp_eq_u64_e64 s1, 0, v[33:34]
	v_cndmask_b32_e64 v25, v30, 0xffffff89, vcc_lo
	v_lshrrev_b32_e32 v26, 23, v41
	s_and_b32 vcc_lo, s1, s0
	s_delay_alu instid0(VALU_DEP_1) | instskip(SKIP_2) | instid1(VALU_DEP_2)
	v_add3_u32 v35, v25, v43, v26
	v_subrev_co_ci_u32_e32 v30, vcc_lo, 0, v41, vcc_lo
	s_mov_b32 s0, exec_lo
	v_add_nc_u32_e32 v36, -1, v35
	s_delay_alu instid0(VALU_DEP_2) | instskip(NEXT) | instid1(VALU_DEP_1)
	v_and_b32_e32 v25, 0xfffff, v30
                                        ; implicit-def: $vgpr30
	v_add_co_u32 v25, vcc_lo, v25, v41
	v_add_co_ci_u32_e32 v26, vcc_lo, 0, v42, vcc_lo
	s_delay_alu instid0(VALU_DEP_4)
	v_cmpx_ne_u32_e32 0, v36
	s_xor_b32 s0, exec_lo, s0
; %bb.49:                               ;   in Loop: Header=BB0_29 Depth=1
	s_delay_alu instid0(VALU_DEP_3) | instskip(SKIP_1) | instid1(VALU_DEP_2)
	v_and_b32_e32 v33, 0x1000000, v25
	v_bfe_u32 v30, v25, 24, 1
	v_cmp_eq_u64_e32 vcc_lo, 0, v[33:34]
	s_delay_alu instid0(VALU_DEP_2)
	v_lshrrev_b64 v[25:26], v30, v[25:26]
	v_cndmask_b32_e32 v30, v35, v36, vcc_lo
; %bb.50:                               ;   in Loop: Header=BB0_29 Depth=1
	s_and_not1_saveexec_b32 s0, s0
; %bb.51:                               ;   in Loop: Header=BB0_29 Depth=1
	s_delay_alu instid0(VALU_DEP_2)
	v_bfe_u32 v30, v25, 23, 1
; %bb.52:                               ;   in Loop: Header=BB0_29 Depth=1
	s_or_b32 exec_lo, exec_lo, s0
	s_delay_alu instid0(VALU_DEP_3) | instskip(NEXT) | instid1(VALU_DEP_2)
	v_lshrrev_b64 v[25:26], 20, v[25:26]
	v_cmp_gt_i32_e32 vcc_lo, 16, v30
	v_cmp_ne_u32_e64 s0, 0, v30
	s_delay_alu instid0(VALU_DEP_3) | instskip(NEXT) | instid1(VALU_DEP_1)
	v_dual_cndmask_b32 v26, 0, v26 :: v_dual_cndmask_b32 v25, 7, v25
	v_cmp_ne_u64_e32 vcc_lo, 0, v[25:26]
                                        ; implicit-def: $vgpr26
	s_delay_alu instid0(VALU_DEP_3) | instskip(NEXT) | instid1(SALU_CYCLE_1)
	s_or_b32 s0, s0, vcc_lo
	s_and_saveexec_b32 s1, s0
	s_delay_alu instid0(SALU_CYCLE_1)
	s_xor_b32 s0, exec_lo, s1
; %bb.53:                               ;   in Loop: Header=BB0_29 Depth=1
	v_min_i32_e32 v26, 15, v30
	s_delay_alu instid0(VALU_DEP_1) | instskip(NEXT) | instid1(VALU_DEP_1)
	v_lshl_or_b32 v26, v26, 3, v29
                                        ; implicit-def: $vgpr29
	v_and_or_b32 v26, v25, 7, v26
; %bb.54:                               ;   in Loop: Header=BB0_29 Depth=1
	s_and_not1_saveexec_b32 s0, s0
; %bb.55:                               ;   in Loop: Header=BB0_29 Depth=1
	v_mov_b32_e32 v26, v29
; %bb.56:                               ;   in Loop: Header=BB0_29 Depth=1
	s_or_b32 exec_lo, exec_lo, s0
.LBB0_57:                               ;   in Loop: Header=BB0_29 Depth=1
	s_delay_alu instid0(SALU_CYCLE_1)
	s_or_b32 exec_lo, exec_lo, s16
.LBB0_58:                               ;   in Loop: Header=BB0_29 Depth=1
	s_and_not1_saveexec_b32 s0, s15
	s_delay_alu instid0(SALU_CYCLE_1)
	s_or_b32 exec_lo, exec_lo, s0
                                        ; implicit-def: $vgpr30
.LBB0_59:                               ;   in Loop: Header=BB0_29 Depth=1
	s_and_not1_saveexec_b32 s0, s14
; %bb.60:                               ;   in Loop: Header=BB0_29 Depth=1
	v_cmp_eq_u64_e32 vcc_lo, 0, v[33:34]
	v_or_b32_e32 v25, 0x7f, v30
	s_delay_alu instid0(VALU_DEP_1)
	v_cndmask_b32_e32 v26, v25, v26, vcc_lo
; %bb.61:                               ;   in Loop: Header=BB0_29 Depth=1
	s_or_b32 exec_lo, exec_lo, s0
	v_dual_mul_f32 v25, v27, v37 :: v_dual_mov_b32 v36, v34
	s_mov_b32 s0, exec_lo
	s_delay_alu instid0(VALU_DEP_1) | instskip(SKIP_1) | instid1(VALU_DEP_2)
	v_mul_f32_e32 v25, v25, v31
	v_add_nc_u32_e32 v31, 1, v38
	v_mul_f32_e32 v25, v39, v25
	global_store_b8 v31, v26, s[2:3]
	v_minmax_f32 v25, v25, s13, 0xc3e00000
	s_delay_alu instid0(VALU_DEP_1) | instskip(SKIP_2) | instid1(VALU_DEP_3)
	v_lshrrev_b32_e32 v30, 24, v25
	v_and_b32_e32 v35, 0x7f800000, v25
	v_and_b32_e32 v33, 0x7fffff, v25
	v_and_b32_e32 v27, 0x80, v30
	s_delay_alu instid0(VALU_DEP_1) | instskip(NEXT) | instid1(VALU_DEP_4)
	v_or_b32_e32 v29, 0x7e, v27
	v_cmpx_ne_u64_e32 0x7f800000, v[35:36]
	s_xor_b32 s14, exec_lo, s0
	s_cbranch_execz .LBB0_75
; %bb.62:                               ;   in Loop: Header=BB0_29 Depth=1
	v_dual_mov_b32 v31, v34 :: v_dual_and_b32 v30, 0x7fffffff, v25
	s_mov_b32 s0, exec_lo
	s_delay_alu instid0(VALU_DEP_1)
	v_cmpx_gt_u64_e32 0x43e00001, v[30:31]
	s_xor_b32 s15, exec_lo, s0
	s_cbranch_execz .LBB0_74
; %bb.63:                               ;   in Loop: Header=BB0_29 Depth=1
	v_mov_b32_e32 v29, 0
	s_mov_b32 s16, exec_lo
	v_cmpx_ne_u32_e32 0, v25
	s_cbranch_execz .LBB0_73
; %bb.64:                               ;   in Loop: Header=BB0_29 Depth=1
	v_bfe_u32 v31, v25, 23, 8
	s_delay_alu instid0(VALU_DEP_1) | instskip(SKIP_2) | instid1(VALU_DEP_3)
	v_sub_nc_u32_e64 v25, 0x79, v31 clamp
	v_cmp_eq_u32_e32 vcc_lo, 0, v31
	v_add_nc_u32_e32 v31, 0xffffff88, v31
	v_cndmask_b32_e64 v41, v25, 0x78, vcc_lo
	v_or_b32_e32 v25, 0x800000, v33
	s_delay_alu instid0(VALU_DEP_2) | instskip(NEXT) | instid1(VALU_DEP_2)
	v_add_nc_u32_e32 v26, 20, v41
	v_cndmask_b32_e32 v33, v25, v33, vcc_lo
	v_add_nc_u32_e32 v29, 19, v41
	s_delay_alu instid0(VALU_DEP_3) | instskip(NEXT) | instid1(VALU_DEP_1)
	v_lshlrev_b64 v[25:26], v26, -1
	v_not_b32_e32 v30, v26
	s_delay_alu instid0(VALU_DEP_2) | instskip(NEXT) | instid1(VALU_DEP_4)
	v_not_b32_e32 v42, v25
	v_lshlrev_b64 v[25:26], v29, 1
	s_delay_alu instid0(VALU_DEP_3) | instskip(SKIP_1) | instid1(VALU_DEP_4)
	v_and_b32_e32 v30, 0, v30
	v_lshrrev_b64 v[35:36], v41, v[33:34]
	v_and_b32_e32 v29, v33, v42
	s_delay_alu instid0(VALU_DEP_1) | instskip(NEXT) | instid1(VALU_DEP_3)
	v_cmp_eq_u64_e64 s0, v[29:30], v[25:26]
	v_and_b32_e32 v33, 0x100000, v35
	v_cndmask_b32_e64 v25, v31, 0xffffff89, vcc_lo
	v_lshrrev_b32_e32 v26, 23, v35
	s_delay_alu instid0(VALU_DEP_3) | instskip(NEXT) | instid1(VALU_DEP_2)
	v_cmp_eq_u64_e64 s1, 0, v[33:34]
	v_add3_u32 v29, v25, v41, v26
	s_delay_alu instid0(VALU_DEP_2) | instskip(NEXT) | instid1(VALU_DEP_1)
	s_and_b32 vcc_lo, s1, s0
	v_add_nc_u32_e32 v31, -1, v29
	v_subrev_co_ci_u32_e32 v30, vcc_lo, 0, v35, vcc_lo
	s_mov_b32 s0, exec_lo
	s_delay_alu instid0(VALU_DEP_1) | instskip(NEXT) | instid1(VALU_DEP_1)
	v_and_b32_e32 v25, 0xfffff, v30
                                        ; implicit-def: $vgpr30
	v_add_co_u32 v25, vcc_lo, v25, v35
	v_add_co_ci_u32_e32 v26, vcc_lo, 0, v36, vcc_lo
	v_cmpx_ne_u32_e32 0, v31
	s_xor_b32 s0, exec_lo, s0
; %bb.65:                               ;   in Loop: Header=BB0_29 Depth=1
	s_delay_alu instid0(VALU_DEP_3) | instskip(SKIP_1) | instid1(VALU_DEP_2)
	v_and_b32_e32 v33, 0x1000000, v25
	v_bfe_u32 v30, v25, 24, 1
	v_cmp_eq_u64_e32 vcc_lo, 0, v[33:34]
	s_delay_alu instid0(VALU_DEP_2)
	v_lshrrev_b64 v[25:26], v30, v[25:26]
	v_cndmask_b32_e32 v30, v29, v31, vcc_lo
; %bb.66:                               ;   in Loop: Header=BB0_29 Depth=1
	s_and_not1_saveexec_b32 s0, s0
; %bb.67:                               ;   in Loop: Header=BB0_29 Depth=1
	s_delay_alu instid0(VALU_DEP_2)
	v_bfe_u32 v30, v25, 23, 1
; %bb.68:                               ;   in Loop: Header=BB0_29 Depth=1
	s_or_b32 exec_lo, exec_lo, s0
	s_delay_alu instid0(VALU_DEP_3) | instskip(NEXT) | instid1(VALU_DEP_2)
	v_lshrrev_b64 v[25:26], 20, v[25:26]
	v_cmp_gt_i32_e32 vcc_lo, 16, v30
	v_cmp_ne_u32_e64 s0, 0, v30
                                        ; implicit-def: $vgpr29
	s_delay_alu instid0(VALU_DEP_3) | instskip(NEXT) | instid1(VALU_DEP_1)
	v_dual_cndmask_b32 v26, 0, v26 :: v_dual_cndmask_b32 v25, 7, v25
	v_cmp_ne_u64_e32 vcc_lo, 0, v[25:26]
	s_delay_alu instid0(VALU_DEP_3) | instskip(NEXT) | instid1(SALU_CYCLE_1)
	s_or_b32 s0, s0, vcc_lo
	s_and_saveexec_b32 s1, s0
	s_delay_alu instid0(SALU_CYCLE_1)
	s_xor_b32 s0, exec_lo, s1
; %bb.69:                               ;   in Loop: Header=BB0_29 Depth=1
	v_min_i32_e32 v26, 15, v30
	s_delay_alu instid0(VALU_DEP_1) | instskip(NEXT) | instid1(VALU_DEP_1)
	v_lshl_or_b32 v26, v26, 3, v27
                                        ; implicit-def: $vgpr27
	v_and_or_b32 v29, v25, 7, v26
; %bb.70:                               ;   in Loop: Header=BB0_29 Depth=1
	s_and_not1_saveexec_b32 s0, s0
; %bb.71:                               ;   in Loop: Header=BB0_29 Depth=1
	v_mov_b32_e32 v29, v27
; %bb.72:                               ;   in Loop: Header=BB0_29 Depth=1
	s_or_b32 exec_lo, exec_lo, s0
.LBB0_73:                               ;   in Loop: Header=BB0_29 Depth=1
	s_delay_alu instid0(SALU_CYCLE_1)
	s_or_b32 exec_lo, exec_lo, s16
.LBB0_74:                               ;   in Loop: Header=BB0_29 Depth=1
	s_and_not1_saveexec_b32 s0, s15
	s_delay_alu instid0(SALU_CYCLE_1)
	s_or_b32 exec_lo, exec_lo, s0
                                        ; implicit-def: $vgpr30
.LBB0_75:                               ;   in Loop: Header=BB0_29 Depth=1
	s_and_not1_saveexec_b32 s0, s14
; %bb.76:                               ;   in Loop: Header=BB0_29 Depth=1
	v_cmp_eq_u64_e32 vcc_lo, 0, v[33:34]
	v_or_b32_e32 v25, 0x7f, v30
	s_delay_alu instid0(VALU_DEP_1)
	v_cndmask_b32_e32 v29, v25, v29, vcc_lo
; %bb.77:                               ;   in Loop: Header=BB0_29 Depth=1
	s_or_b32 exec_lo, exec_lo, s0
	v_mul_f32_e32 v25, v28, v37
	s_mov_b32 s0, exec_lo
	v_mov_b32_e32 v31, v34
	s_delay_alu instid0(VALU_DEP_2) | instskip(NEXT) | instid1(VALU_DEP_1)
	v_dual_mul_f32 v25, v25, v32 :: v_dual_add_nc_u32 v32, 2, v38
	v_mul_f32_e32 v25, v39, v25
	global_store_b8 v32, v29, s[2:3]
	v_minmax_f32 v25, v25, s13, 0xc3e00000
	s_delay_alu instid0(VALU_DEP_1) | instskip(SKIP_2) | instid1(VALU_DEP_3)
	v_lshrrev_b32_e32 v28, 24, v25
	v_and_b32_e32 v30, 0x7f800000, v25
	v_and_b32_e32 v33, 0x7fffff, v25
	;; [unrolled: 1-line block ×3, first 2 shown]
	s_delay_alu instid0(VALU_DEP_1) | instskip(NEXT) | instid1(VALU_DEP_4)
	v_or_b32_e32 v26, 0x7e, v27
	v_cmpx_ne_u64_e32 0x7f800000, v[30:31]
	s_xor_b32 s14, exec_lo, s0
	s_cbranch_execz .LBB0_91
; %bb.78:                               ;   in Loop: Header=BB0_29 Depth=1
	v_dual_mov_b32 v29, v34 :: v_dual_and_b32 v28, 0x7fffffff, v25
	s_mov_b32 s0, exec_lo
	s_delay_alu instid0(VALU_DEP_1)
	v_cmpx_gt_u64_e32 0x43e00001, v[28:29]
	s_xor_b32 s15, exec_lo, s0
	s_cbranch_execz .LBB0_90
; %bb.79:                               ;   in Loop: Header=BB0_29 Depth=1
	v_mov_b32_e32 v26, 0
	s_mov_b32 s16, exec_lo
	v_cmpx_ne_u32_e32 0, v25
	s_cbranch_execz .LBB0_89
; %bb.80:                               ;   in Loop: Header=BB0_29 Depth=1
	v_bfe_u32 v30, v25, 23, 8
	s_delay_alu instid0(VALU_DEP_1) | instskip(SKIP_2) | instid1(VALU_DEP_3)
	v_sub_nc_u32_e64 v25, 0x79, v30 clamp
	v_cmp_eq_u32_e32 vcc_lo, 0, v30
	v_add_nc_u32_e32 v30, 0xffffff88, v30
	v_cndmask_b32_e64 v35, v25, 0x78, vcc_lo
	v_or_b32_e32 v25, 0x800000, v33
	s_delay_alu instid0(VALU_DEP_1) | instskip(SKIP_1) | instid1(VALU_DEP_2)
	v_dual_cndmask_b32 v33, v25, v33 :: v_dual_add_nc_u32 v26, 20, v35
	v_add_nc_u32_e32 v28, 19, v35
	v_lshlrev_b64 v[25:26], v26, -1
	s_delay_alu instid0(VALU_DEP_3) | instskip(NEXT) | instid1(VALU_DEP_2)
	v_lshrrev_b64 v[31:32], v35, v[33:34]
	v_not_b32_e32 v29, v26
	s_delay_alu instid0(VALU_DEP_3) | instskip(SKIP_1) | instid1(VALU_DEP_3)
	v_not_b32_e32 v36, v25
	v_lshlrev_b64 v[25:26], v28, 1
	v_and_b32_e32 v29, 0, v29
	s_delay_alu instid0(VALU_DEP_3) | instskip(SKIP_1) | instid1(VALU_DEP_2)
	v_and_b32_e32 v28, v33, v36
	v_and_b32_e32 v33, 0x100000, v31
	v_cmp_eq_u64_e64 s0, v[28:29], v[25:26]
	s_delay_alu instid0(VALU_DEP_2) | instskip(SKIP_2) | instid1(VALU_DEP_3)
	v_cmp_eq_u64_e64 s1, 0, v[33:34]
	v_cndmask_b32_e64 v25, v30, 0xffffff89, vcc_lo
	v_lshrrev_b32_e32 v26, 23, v31
	s_and_b32 vcc_lo, s1, s0
	s_delay_alu instid0(VALU_DEP_1) | instskip(SKIP_2) | instid1(VALU_DEP_2)
	v_add3_u32 v29, v25, v35, v26
	v_subrev_co_ci_u32_e32 v28, vcc_lo, 0, v31, vcc_lo
	s_mov_b32 s0, exec_lo
	v_add_nc_u32_e32 v30, -1, v29
	s_delay_alu instid0(VALU_DEP_2) | instskip(NEXT) | instid1(VALU_DEP_1)
	v_and_b32_e32 v25, 0xfffff, v28
                                        ; implicit-def: $vgpr28
	v_add_co_u32 v25, vcc_lo, v25, v31
	v_add_co_ci_u32_e32 v26, vcc_lo, 0, v32, vcc_lo
	s_delay_alu instid0(VALU_DEP_4)
	v_cmpx_ne_u32_e32 0, v30
	s_xor_b32 s0, exec_lo, s0
; %bb.81:                               ;   in Loop: Header=BB0_29 Depth=1
	s_delay_alu instid0(VALU_DEP_3) | instskip(SKIP_1) | instid1(VALU_DEP_2)
	v_and_b32_e32 v33, 0x1000000, v25
	v_bfe_u32 v28, v25, 24, 1
	v_cmp_eq_u64_e32 vcc_lo, 0, v[33:34]
	s_delay_alu instid0(VALU_DEP_2)
	v_lshrrev_b64 v[25:26], v28, v[25:26]
	v_cndmask_b32_e32 v28, v29, v30, vcc_lo
; %bb.82:                               ;   in Loop: Header=BB0_29 Depth=1
	s_and_not1_saveexec_b32 s0, s0
; %bb.83:                               ;   in Loop: Header=BB0_29 Depth=1
	s_delay_alu instid0(VALU_DEP_2)
	v_bfe_u32 v28, v25, 23, 1
; %bb.84:                               ;   in Loop: Header=BB0_29 Depth=1
	s_or_b32 exec_lo, exec_lo, s0
	s_delay_alu instid0(VALU_DEP_3) | instskip(NEXT) | instid1(VALU_DEP_2)
	v_lshrrev_b64 v[25:26], 20, v[25:26]
	v_cmp_gt_i32_e32 vcc_lo, 16, v28
	v_cmp_ne_u32_e64 s0, 0, v28
	s_delay_alu instid0(VALU_DEP_3) | instskip(NEXT) | instid1(VALU_DEP_1)
	v_dual_cndmask_b32 v26, 0, v26 :: v_dual_cndmask_b32 v25, 7, v25
	v_cmp_ne_u64_e32 vcc_lo, 0, v[25:26]
                                        ; implicit-def: $vgpr26
	s_delay_alu instid0(VALU_DEP_3) | instskip(NEXT) | instid1(SALU_CYCLE_1)
	s_or_b32 s0, s0, vcc_lo
	s_and_saveexec_b32 s1, s0
	s_delay_alu instid0(SALU_CYCLE_1)
	s_xor_b32 s0, exec_lo, s1
; %bb.85:                               ;   in Loop: Header=BB0_29 Depth=1
	v_min_i32_e32 v26, 15, v28
	s_delay_alu instid0(VALU_DEP_1) | instskip(NEXT) | instid1(VALU_DEP_1)
	v_lshl_or_b32 v26, v26, 3, v27
                                        ; implicit-def: $vgpr27
	v_and_or_b32 v26, v25, 7, v26
; %bb.86:                               ;   in Loop: Header=BB0_29 Depth=1
	s_and_not1_saveexec_b32 s0, s0
; %bb.87:                               ;   in Loop: Header=BB0_29 Depth=1
	v_mov_b32_e32 v26, v27
; %bb.88:                               ;   in Loop: Header=BB0_29 Depth=1
	s_or_b32 exec_lo, exec_lo, s0
.LBB0_89:                               ;   in Loop: Header=BB0_29 Depth=1
	s_delay_alu instid0(SALU_CYCLE_1)
	s_or_b32 exec_lo, exec_lo, s16
.LBB0_90:                               ;   in Loop: Header=BB0_29 Depth=1
	s_and_not1_saveexec_b32 s0, s15
	s_delay_alu instid0(SALU_CYCLE_1)
	s_or_b32 exec_lo, exec_lo, s0
                                        ; implicit-def: $vgpr28
.LBB0_91:                               ;   in Loop: Header=BB0_29 Depth=1
	s_and_not1_saveexec_b32 s0, s14
; %bb.92:                               ;   in Loop: Header=BB0_29 Depth=1
	v_cmp_eq_u64_e32 vcc_lo, 0, v[33:34]
	v_or_b32_e32 v25, 0x7f, v28
	s_delay_alu instid0(VALU_DEP_1)
	v_cndmask_b32_e32 v26, v25, v26, vcc_lo
; %bb.93:                               ;   in Loop: Header=BB0_29 Depth=1
	s_or_b32 exec_lo, exec_lo, s0
	s_waitcnt vmcnt(5)
	v_dual_mul_f32 v17, v17, v37 :: v_dual_mov_b32 v28, v34
	v_add_nc_u32_e32 v29, 3, v38
	s_waitcnt vmcnt(4)
	s_delay_alu instid0(VALU_DEP_2) | instskip(SKIP_2) | instid1(VALU_DEP_1)
	v_mul_f32_e32 v17, v17, v21
	global_store_b8 v29, v26, s[2:3]
	v_mul_f32_e32 v17, v39, v17
	v_minmax_f32 v21, v17, s13, 0xc3e00000
	s_delay_alu instid0(VALU_DEP_1) | instskip(SKIP_2) | instid1(VALU_DEP_3)
	v_lshrrev_b32_e32 v25, 24, v21
	v_and_b32_e32 v27, 0x7f800000, v21
	v_and_b32_e32 v33, 0x7fffff, v21
	;; [unrolled: 1-line block ×3, first 2 shown]
	s_delay_alu instid0(VALU_DEP_3) | instskip(NEXT) | instid1(VALU_DEP_2)
	v_cmp_ne_u64_e32 vcc_lo, 0x7f800000, v[27:28]
	v_or_b32_e32 v27, 0x7e, v17
	s_and_saveexec_b32 s0, vcc_lo
	s_delay_alu instid0(SALU_CYCLE_1)
	s_xor_b32 s14, exec_lo, s0
	s_cbranch_execz .LBB0_107
; %bb.94:                               ;   in Loop: Header=BB0_29 Depth=1
	v_dual_mov_b32 v26, v34 :: v_dual_and_b32 v25, 0x7fffffff, v21
	s_mov_b32 s0, exec_lo
	s_delay_alu instid0(VALU_DEP_1)
	v_cmpx_gt_u64_e32 0x43e00001, v[25:26]
	s_xor_b32 s15, exec_lo, s0
	s_cbranch_execz .LBB0_106
; %bb.95:                               ;   in Loop: Header=BB0_29 Depth=1
	v_mov_b32_e32 v27, 0
	s_mov_b32 s16, exec_lo
	v_cmpx_ne_u32_e32 0, v21
	s_cbranch_execz .LBB0_105
; %bb.96:                               ;   in Loop: Header=BB0_29 Depth=1
	v_bfe_u32 v21, v21, 23, 8
	s_delay_alu instid0(VALU_DEP_1) | instskip(SKIP_2) | instid1(VALU_DEP_3)
	v_sub_nc_u32_e64 v25, 0x79, v21 clamp
	v_cmp_eq_u32_e32 vcc_lo, 0, v21
	v_add_nc_u32_e32 v21, 0xffffff88, v21
	v_cndmask_b32_e64 v31, v25, 0x78, vcc_lo
	v_or_b32_e32 v25, 0x800000, v33
	s_delay_alu instid0(VALU_DEP_3) | instskip(NEXT) | instid1(VALU_DEP_2)
	v_cndmask_b32_e64 v21, v21, 0xffffff89, vcc_lo
	v_dual_cndmask_b32 v33, v25, v33 :: v_dual_add_nc_u32 v26, 20, v31
	v_add_nc_u32_e32 v27, 19, v31
	s_delay_alu instid0(VALU_DEP_2) | instskip(NEXT) | instid1(VALU_DEP_3)
	v_lshlrev_b64 v[25:26], v26, -1
	v_lshrrev_b64 v[29:30], v31, v[33:34]
	s_delay_alu instid0(VALU_DEP_2) | instskip(NEXT) | instid1(VALU_DEP_3)
	v_not_b32_e32 v28, v26
	v_not_b32_e32 v32, v25
	v_lshlrev_b64 v[25:26], v27, 1
	s_delay_alu instid0(VALU_DEP_3) | instskip(NEXT) | instid1(VALU_DEP_3)
	v_and_b32_e32 v28, 0, v28
	v_and_b32_e32 v27, v33, v32
	;; [unrolled: 1-line block ×3, first 2 shown]
	s_delay_alu instid0(VALU_DEP_2) | instskip(NEXT) | instid1(VALU_DEP_2)
	v_cmp_eq_u64_e64 s0, v[27:28], v[25:26]
	v_cmp_eq_u64_e64 s1, 0, v[33:34]
	v_lshrrev_b32_e32 v25, 23, v29
	s_delay_alu instid0(VALU_DEP_1) | instskip(NEXT) | instid1(VALU_DEP_3)
	v_add3_u32 v27, v21, v31, v25
	s_and_b32 vcc_lo, s1, s0
	s_mov_b32 s0, exec_lo
	v_subrev_co_ci_u32_e32 v26, vcc_lo, 0, v29, vcc_lo
	s_delay_alu instid0(VALU_DEP_2) | instskip(NEXT) | instid1(VALU_DEP_2)
	v_add_nc_u32_e32 v28, -1, v27
	v_and_b32_e32 v21, 0xfffff, v26
	s_delay_alu instid0(VALU_DEP_1) | instskip(SKIP_1) | instid1(VALU_DEP_4)
	v_add_co_u32 v25, vcc_lo, v21, v29
	v_add_co_ci_u32_e32 v26, vcc_lo, 0, v30, vcc_lo
                                        ; implicit-def: $vgpr21
	v_cmpx_ne_u32_e32 0, v28
	s_xor_b32 s0, exec_lo, s0
; %bb.97:                               ;   in Loop: Header=BB0_29 Depth=1
	s_delay_alu instid0(VALU_DEP_3) | instskip(SKIP_1) | instid1(VALU_DEP_2)
	v_and_b32_e32 v33, 0x1000000, v25
	v_bfe_u32 v21, v25, 24, 1
	v_cmp_eq_u64_e32 vcc_lo, 0, v[33:34]
	s_delay_alu instid0(VALU_DEP_2)
	v_lshrrev_b64 v[25:26], v21, v[25:26]
	v_cndmask_b32_e32 v21, v27, v28, vcc_lo
; %bb.98:                               ;   in Loop: Header=BB0_29 Depth=1
	s_and_not1_saveexec_b32 s0, s0
; %bb.99:                               ;   in Loop: Header=BB0_29 Depth=1
	s_delay_alu instid0(VALU_DEP_2)
	v_bfe_u32 v21, v25, 23, 1
; %bb.100:                              ;   in Loop: Header=BB0_29 Depth=1
	s_or_b32 exec_lo, exec_lo, s0
	s_delay_alu instid0(VALU_DEP_3) | instskip(NEXT) | instid1(VALU_DEP_2)
	v_lshrrev_b64 v[25:26], 20, v[25:26]
	v_cmp_gt_i32_e32 vcc_lo, 16, v21
	v_cmp_ne_u32_e64 s0, 0, v21
                                        ; implicit-def: $vgpr27
	s_delay_alu instid0(VALU_DEP_3) | instskip(NEXT) | instid1(VALU_DEP_1)
	v_dual_cndmask_b32 v26, 0, v26 :: v_dual_cndmask_b32 v25, 7, v25
	v_cmp_ne_u64_e32 vcc_lo, 0, v[25:26]
	s_delay_alu instid0(VALU_DEP_3) | instskip(NEXT) | instid1(SALU_CYCLE_1)
	s_or_b32 s0, s0, vcc_lo
	s_and_saveexec_b32 s1, s0
	s_delay_alu instid0(SALU_CYCLE_1)
	s_xor_b32 s0, exec_lo, s1
; %bb.101:                              ;   in Loop: Header=BB0_29 Depth=1
	v_min_i32_e32 v21, 15, v21
	s_delay_alu instid0(VALU_DEP_1) | instskip(NEXT) | instid1(VALU_DEP_1)
	v_lshl_or_b32 v17, v21, 3, v17
	v_and_or_b32 v27, v25, 7, v17
                                        ; implicit-def: $vgpr17
; %bb.102:                              ;   in Loop: Header=BB0_29 Depth=1
	s_and_not1_saveexec_b32 s0, s0
; %bb.103:                              ;   in Loop: Header=BB0_29 Depth=1
	v_mov_b32_e32 v27, v17
; %bb.104:                              ;   in Loop: Header=BB0_29 Depth=1
	s_or_b32 exec_lo, exec_lo, s0
.LBB0_105:                              ;   in Loop: Header=BB0_29 Depth=1
	s_delay_alu instid0(SALU_CYCLE_1)
	s_or_b32 exec_lo, exec_lo, s16
.LBB0_106:                              ;   in Loop: Header=BB0_29 Depth=1
	s_and_not1_saveexec_b32 s0, s15
	s_delay_alu instid0(SALU_CYCLE_1)
	s_or_b32 exec_lo, exec_lo, s0
                                        ; implicit-def: $vgpr25
.LBB0_107:                              ;   in Loop: Header=BB0_29 Depth=1
	s_and_not1_saveexec_b32 s0, s14
; %bb.108:                              ;   in Loop: Header=BB0_29 Depth=1
	v_cmp_eq_u64_e32 vcc_lo, 0, v[33:34]
	v_or_b32_e32 v17, 0x7f, v25
	s_delay_alu instid0(VALU_DEP_1)
	v_cndmask_b32_e32 v27, v17, v27, vcc_lo
; %bb.109:                              ;   in Loop: Header=BB0_29 Depth=1
	s_or_b32 exec_lo, exec_lo, s0
	v_dual_mul_f32 v17, v18, v37 :: v_dual_add_nc_u32 v28, 4, v38
	s_mov_b32 s0, exec_lo
	s_delay_alu instid0(VALU_DEP_1) | instskip(SKIP_2) | instid1(VALU_DEP_1)
	v_dual_mov_b32 v26, v34 :: v_dual_mul_f32 v17, v17, v22
	global_store_b8 v28, v27, s[2:3]
	v_mul_f32_e32 v17, v39, v17
	v_minmax_f32 v17, v17, s13, 0xc3e00000
	s_delay_alu instid0(VALU_DEP_1) | instskip(SKIP_2) | instid1(VALU_DEP_3)
	v_lshrrev_b32_e32 v22, 24, v17
	v_and_b32_e32 v25, 0x7f800000, v17
	v_and_b32_e32 v33, 0x7fffff, v17
	;; [unrolled: 1-line block ×3, first 2 shown]
	s_delay_alu instid0(VALU_DEP_1) | instskip(NEXT) | instid1(VALU_DEP_4)
	v_or_b32_e32 v18, 0x7e, v21
	v_cmpx_ne_u64_e32 0x7f800000, v[25:26]
	s_xor_b32 s14, exec_lo, s0
	s_cbranch_execz .LBB0_123
; %bb.110:                              ;   in Loop: Header=BB0_29 Depth=1
	v_dual_mov_b32 v26, v34 :: v_dual_and_b32 v25, 0x7fffffff, v17
	s_mov_b32 s0, exec_lo
	s_delay_alu instid0(VALU_DEP_1)
	v_cmpx_gt_u64_e32 0x43e00001, v[25:26]
	s_xor_b32 s15, exec_lo, s0
	s_cbranch_execz .LBB0_122
; %bb.111:                              ;   in Loop: Header=BB0_29 Depth=1
	v_mov_b32_e32 v18, 0
	s_mov_b32 s16, exec_lo
	v_cmpx_ne_u32_e32 0, v17
	s_cbranch_execz .LBB0_121
; %bb.112:                              ;   in Loop: Header=BB0_29 Depth=1
	v_bfe_u32 v22, v17, 23, 8
	s_delay_alu instid0(VALU_DEP_1) | instskip(SKIP_2) | instid1(VALU_DEP_3)
	v_sub_nc_u32_e64 v17, 0x79, v22 clamp
	v_cmp_eq_u32_e32 vcc_lo, 0, v22
	v_add_nc_u32_e32 v22, 0xffffff88, v22
	v_cndmask_b32_e64 v29, v17, 0x78, vcc_lo
	v_or_b32_e32 v17, 0x800000, v33
	s_delay_alu instid0(VALU_DEP_2) | instskip(NEXT) | instid1(VALU_DEP_2)
	v_add_nc_u32_e32 v18, 20, v29
	v_cndmask_b32_e32 v33, v17, v33, vcc_lo
	v_add_nc_u32_e32 v25, 19, v29
	s_delay_alu instid0(VALU_DEP_3) | instskip(NEXT) | instid1(VALU_DEP_1)
	v_lshlrev_b64 v[17:18], v18, -1
	v_not_b32_e32 v26, v18
	s_delay_alu instid0(VALU_DEP_2) | instskip(NEXT) | instid1(VALU_DEP_4)
	v_not_b32_e32 v30, v17
	v_lshlrev_b64 v[17:18], v25, 1
	s_delay_alu instid0(VALU_DEP_3) | instskip(SKIP_1) | instid1(VALU_DEP_4)
	v_and_b32_e32 v26, 0, v26
	v_lshrrev_b64 v[27:28], v29, v[33:34]
	v_and_b32_e32 v25, v33, v30
	s_delay_alu instid0(VALU_DEP_1) | instskip(NEXT) | instid1(VALU_DEP_3)
	v_cmp_eq_u64_e64 s0, v[25:26], v[17:18]
	v_and_b32_e32 v33, 0x100000, v27
	v_cndmask_b32_e64 v17, v22, 0xffffff89, vcc_lo
	v_lshrrev_b32_e32 v18, 23, v27
	s_delay_alu instid0(VALU_DEP_3) | instskip(NEXT) | instid1(VALU_DEP_2)
	v_cmp_eq_u64_e64 s1, 0, v[33:34]
	v_add3_u32 v25, v17, v29, v18
	s_delay_alu instid0(VALU_DEP_2) | instskip(NEXT) | instid1(VALU_DEP_1)
	s_and_b32 vcc_lo, s1, s0
	v_add_nc_u32_e32 v26, -1, v25
	v_subrev_co_ci_u32_e32 v22, vcc_lo, 0, v27, vcc_lo
	s_mov_b32 s0, exec_lo
	s_delay_alu instid0(VALU_DEP_1) | instskip(NEXT) | instid1(VALU_DEP_1)
	v_and_b32_e32 v17, 0xfffff, v22
                                        ; implicit-def: $vgpr22
	v_add_co_u32 v17, vcc_lo, v17, v27
	v_add_co_ci_u32_e32 v18, vcc_lo, 0, v28, vcc_lo
	v_cmpx_ne_u32_e32 0, v26
	s_xor_b32 s0, exec_lo, s0
; %bb.113:                              ;   in Loop: Header=BB0_29 Depth=1
	s_delay_alu instid0(VALU_DEP_3) | instskip(SKIP_1) | instid1(VALU_DEP_2)
	v_and_b32_e32 v33, 0x1000000, v17
	v_bfe_u32 v22, v17, 24, 1
	v_cmp_eq_u64_e32 vcc_lo, 0, v[33:34]
	s_delay_alu instid0(VALU_DEP_2)
	v_lshrrev_b64 v[17:18], v22, v[17:18]
	v_cndmask_b32_e32 v22, v25, v26, vcc_lo
; %bb.114:                              ;   in Loop: Header=BB0_29 Depth=1
	s_and_not1_saveexec_b32 s0, s0
; %bb.115:                              ;   in Loop: Header=BB0_29 Depth=1
	s_delay_alu instid0(VALU_DEP_2)
	v_bfe_u32 v22, v17, 23, 1
; %bb.116:                              ;   in Loop: Header=BB0_29 Depth=1
	s_or_b32 exec_lo, exec_lo, s0
	s_delay_alu instid0(VALU_DEP_3) | instskip(NEXT) | instid1(VALU_DEP_2)
	v_lshrrev_b64 v[17:18], 20, v[17:18]
	v_cmp_gt_i32_e32 vcc_lo, 16, v22
	v_cmp_ne_u32_e64 s0, 0, v22
	s_delay_alu instid0(VALU_DEP_3) | instskip(NEXT) | instid1(VALU_DEP_1)
	v_dual_cndmask_b32 v18, 0, v18 :: v_dual_cndmask_b32 v17, 7, v17
	v_cmp_ne_u64_e32 vcc_lo, 0, v[17:18]
                                        ; implicit-def: $vgpr18
	s_delay_alu instid0(VALU_DEP_3) | instskip(NEXT) | instid1(SALU_CYCLE_1)
	s_or_b32 s0, s0, vcc_lo
	s_and_saveexec_b32 s1, s0
	s_delay_alu instid0(SALU_CYCLE_1)
	s_xor_b32 s0, exec_lo, s1
; %bb.117:                              ;   in Loop: Header=BB0_29 Depth=1
	v_min_i32_e32 v18, 15, v22
	s_delay_alu instid0(VALU_DEP_1) | instskip(NEXT) | instid1(VALU_DEP_1)
	v_lshl_or_b32 v18, v18, 3, v21
                                        ; implicit-def: $vgpr21
	v_and_or_b32 v18, v17, 7, v18
; %bb.118:                              ;   in Loop: Header=BB0_29 Depth=1
	s_and_not1_saveexec_b32 s0, s0
; %bb.119:                              ;   in Loop: Header=BB0_29 Depth=1
	v_mov_b32_e32 v18, v21
; %bb.120:                              ;   in Loop: Header=BB0_29 Depth=1
	s_or_b32 exec_lo, exec_lo, s0
.LBB0_121:                              ;   in Loop: Header=BB0_29 Depth=1
	s_delay_alu instid0(SALU_CYCLE_1)
	s_or_b32 exec_lo, exec_lo, s16
.LBB0_122:                              ;   in Loop: Header=BB0_29 Depth=1
	s_and_not1_saveexec_b32 s0, s15
	s_delay_alu instid0(SALU_CYCLE_1)
	s_or_b32 exec_lo, exec_lo, s0
                                        ; implicit-def: $vgpr22
.LBB0_123:                              ;   in Loop: Header=BB0_29 Depth=1
	s_and_not1_saveexec_b32 s0, s14
; %bb.124:                              ;   in Loop: Header=BB0_29 Depth=1
	v_cmp_eq_u64_e32 vcc_lo, 0, v[33:34]
	v_or_b32_e32 v17, 0x7f, v22
	s_delay_alu instid0(VALU_DEP_1)
	v_cndmask_b32_e32 v18, v17, v18, vcc_lo
; %bb.125:                              ;   in Loop: Header=BB0_29 Depth=1
	s_or_b32 exec_lo, exec_lo, s0
	v_dual_mul_f32 v17, v19, v37 :: v_dual_mov_b32 v26, v34
	s_mov_b32 s0, exec_lo
	s_delay_alu instid0(VALU_DEP_1) | instskip(SKIP_1) | instid1(VALU_DEP_2)
	v_mul_f32_e32 v17, v17, v23
	v_add_nc_u32_e32 v23, 5, v38
	v_mul_f32_e32 v17, v39, v17
	global_store_b8 v23, v18, s[2:3]
	v_minmax_f32 v17, v17, s13, 0xc3e00000
	s_delay_alu instid0(VALU_DEP_1) | instskip(SKIP_2) | instid1(VALU_DEP_3)
	v_lshrrev_b32_e32 v22, 24, v17
	v_and_b32_e32 v25, 0x7f800000, v17
	v_and_b32_e32 v33, 0x7fffff, v17
	;; [unrolled: 1-line block ×3, first 2 shown]
	s_delay_alu instid0(VALU_DEP_1) | instskip(NEXT) | instid1(VALU_DEP_4)
	v_or_b32_e32 v21, 0x7e, v19
	v_cmpx_ne_u64_e32 0x7f800000, v[25:26]
	s_xor_b32 s14, exec_lo, s0
	s_cbranch_execz .LBB0_139
; %bb.126:                              ;   in Loop: Header=BB0_29 Depth=1
	v_dual_mov_b32 v23, v34 :: v_dual_and_b32 v22, 0x7fffffff, v17
	s_mov_b32 s0, exec_lo
	s_delay_alu instid0(VALU_DEP_1)
	v_cmpx_gt_u64_e32 0x43e00001, v[22:23]
	s_xor_b32 s15, exec_lo, s0
	s_cbranch_execz .LBB0_138
; %bb.127:                              ;   in Loop: Header=BB0_29 Depth=1
	v_mov_b32_e32 v21, 0
	s_mov_b32 s16, exec_lo
	v_cmpx_ne_u32_e32 0, v17
	s_cbranch_execz .LBB0_137
; %bb.128:                              ;   in Loop: Header=BB0_29 Depth=1
	v_bfe_u32 v23, v17, 23, 8
	s_delay_alu instid0(VALU_DEP_1) | instskip(SKIP_2) | instid1(VALU_DEP_3)
	v_sub_nc_u32_e64 v17, 0x79, v23 clamp
	v_cmp_eq_u32_e32 vcc_lo, 0, v23
	v_add_nc_u32_e32 v23, 0xffffff88, v23
	v_cndmask_b32_e64 v27, v17, 0x78, vcc_lo
	v_or_b32_e32 v17, 0x800000, v33
	s_delay_alu instid0(VALU_DEP_1) | instskip(SKIP_1) | instid1(VALU_DEP_2)
	v_dual_cndmask_b32 v33, v17, v33 :: v_dual_add_nc_u32 v18, 20, v27
	v_add_nc_u32_e32 v21, 19, v27
	v_lshlrev_b64 v[17:18], v18, -1
	s_delay_alu instid0(VALU_DEP_3) | instskip(NEXT) | instid1(VALU_DEP_2)
	v_lshrrev_b64 v[25:26], v27, v[33:34]
	v_not_b32_e32 v22, v18
	s_delay_alu instid0(VALU_DEP_3) | instskip(SKIP_1) | instid1(VALU_DEP_3)
	v_not_b32_e32 v28, v17
	v_lshlrev_b64 v[17:18], v21, 1
	v_and_b32_e32 v22, 0, v22
	s_delay_alu instid0(VALU_DEP_3) | instskip(SKIP_1) | instid1(VALU_DEP_2)
	v_and_b32_e32 v21, v33, v28
	v_and_b32_e32 v33, 0x100000, v25
	v_cmp_eq_u64_e64 s0, v[21:22], v[17:18]
	s_delay_alu instid0(VALU_DEP_2) | instskip(SKIP_2) | instid1(VALU_DEP_3)
	v_cmp_eq_u64_e64 s1, 0, v[33:34]
	v_cndmask_b32_e64 v17, v23, 0xffffff89, vcc_lo
	v_lshrrev_b32_e32 v18, 23, v25
	s_and_b32 vcc_lo, s1, s0
	s_delay_alu instid0(VALU_DEP_1) | instskip(SKIP_2) | instid1(VALU_DEP_2)
	v_add3_u32 v21, v17, v27, v18
	v_subrev_co_ci_u32_e32 v22, vcc_lo, 0, v25, vcc_lo
	s_mov_b32 s0, exec_lo
	v_add_nc_u32_e32 v23, -1, v21
	s_delay_alu instid0(VALU_DEP_2) | instskip(NEXT) | instid1(VALU_DEP_1)
	v_and_b32_e32 v17, 0xfffff, v22
                                        ; implicit-def: $vgpr22
	v_add_co_u32 v17, vcc_lo, v17, v25
	v_add_co_ci_u32_e32 v18, vcc_lo, 0, v26, vcc_lo
	s_delay_alu instid0(VALU_DEP_4)
	v_cmpx_ne_u32_e32 0, v23
	s_xor_b32 s0, exec_lo, s0
; %bb.129:                              ;   in Loop: Header=BB0_29 Depth=1
	s_delay_alu instid0(VALU_DEP_3) | instskip(SKIP_1) | instid1(VALU_DEP_2)
	v_and_b32_e32 v33, 0x1000000, v17
	v_bfe_u32 v22, v17, 24, 1
	v_cmp_eq_u64_e32 vcc_lo, 0, v[33:34]
	s_delay_alu instid0(VALU_DEP_2)
	v_lshrrev_b64 v[17:18], v22, v[17:18]
	v_cndmask_b32_e32 v22, v21, v23, vcc_lo
; %bb.130:                              ;   in Loop: Header=BB0_29 Depth=1
	s_and_not1_saveexec_b32 s0, s0
; %bb.131:                              ;   in Loop: Header=BB0_29 Depth=1
	s_delay_alu instid0(VALU_DEP_2)
	v_bfe_u32 v22, v17, 23, 1
; %bb.132:                              ;   in Loop: Header=BB0_29 Depth=1
	s_or_b32 exec_lo, exec_lo, s0
	s_delay_alu instid0(VALU_DEP_3) | instskip(NEXT) | instid1(VALU_DEP_2)
	v_lshrrev_b64 v[17:18], 20, v[17:18]
	v_cmp_gt_i32_e32 vcc_lo, 16, v22
	v_cmp_ne_u32_e64 s0, 0, v22
                                        ; implicit-def: $vgpr21
	s_delay_alu instid0(VALU_DEP_3) | instskip(NEXT) | instid1(VALU_DEP_1)
	v_dual_cndmask_b32 v18, 0, v18 :: v_dual_cndmask_b32 v17, 7, v17
	v_cmp_ne_u64_e32 vcc_lo, 0, v[17:18]
	s_delay_alu instid0(VALU_DEP_3) | instskip(NEXT) | instid1(SALU_CYCLE_1)
	s_or_b32 s0, s0, vcc_lo
	s_and_saveexec_b32 s1, s0
	s_delay_alu instid0(SALU_CYCLE_1)
	s_xor_b32 s0, exec_lo, s1
; %bb.133:                              ;   in Loop: Header=BB0_29 Depth=1
	v_min_i32_e32 v18, 15, v22
	s_delay_alu instid0(VALU_DEP_1) | instskip(NEXT) | instid1(VALU_DEP_1)
	v_lshl_or_b32 v18, v18, 3, v19
                                        ; implicit-def: $vgpr19
	v_and_or_b32 v21, v17, 7, v18
; %bb.134:                              ;   in Loop: Header=BB0_29 Depth=1
	s_and_not1_saveexec_b32 s0, s0
; %bb.135:                              ;   in Loop: Header=BB0_29 Depth=1
	v_mov_b32_e32 v21, v19
; %bb.136:                              ;   in Loop: Header=BB0_29 Depth=1
	s_or_b32 exec_lo, exec_lo, s0
.LBB0_137:                              ;   in Loop: Header=BB0_29 Depth=1
	s_delay_alu instid0(SALU_CYCLE_1)
	s_or_b32 exec_lo, exec_lo, s16
.LBB0_138:                              ;   in Loop: Header=BB0_29 Depth=1
	s_and_not1_saveexec_b32 s0, s15
	s_delay_alu instid0(SALU_CYCLE_1)
	s_or_b32 exec_lo, exec_lo, s0
                                        ; implicit-def: $vgpr22
.LBB0_139:                              ;   in Loop: Header=BB0_29 Depth=1
	s_and_not1_saveexec_b32 s0, s14
; %bb.140:                              ;   in Loop: Header=BB0_29 Depth=1
	v_cmp_eq_u64_e32 vcc_lo, 0, v[33:34]
	v_or_b32_e32 v17, 0x7f, v22
	s_delay_alu instid0(VALU_DEP_1)
	v_cndmask_b32_e32 v21, v17, v21, vcc_lo
; %bb.141:                              ;   in Loop: Header=BB0_29 Depth=1
	s_or_b32 exec_lo, exec_lo, s0
	v_mul_f32_e32 v17, v20, v37
	s_mov_b32 s0, exec_lo
	v_mov_b32_e32 v23, v34
	s_delay_alu instid0(VALU_DEP_2) | instskip(NEXT) | instid1(VALU_DEP_1)
	v_dual_mul_f32 v17, v17, v24 :: v_dual_add_nc_u32 v24, 6, v38
	v_mul_f32_e32 v17, v39, v17
	global_store_b8 v24, v21, s[2:3]
	v_minmax_f32 v17, v17, s13, 0xc3e00000
	s_delay_alu instid0(VALU_DEP_1) | instskip(SKIP_2) | instid1(VALU_DEP_3)
	v_lshrrev_b32_e32 v20, 24, v17
	v_and_b32_e32 v22, 0x7f800000, v17
	v_and_b32_e32 v33, 0x7fffff, v17
	;; [unrolled: 1-line block ×3, first 2 shown]
	s_delay_alu instid0(VALU_DEP_1) | instskip(NEXT) | instid1(VALU_DEP_4)
	v_or_b32_e32 v18, 0x7e, v19
	v_cmpx_ne_u64_e32 0x7f800000, v[22:23]
	s_xor_b32 s14, exec_lo, s0
	s_cbranch_execz .LBB0_155
; %bb.142:                              ;   in Loop: Header=BB0_29 Depth=1
	v_dual_mov_b32 v21, v34 :: v_dual_and_b32 v20, 0x7fffffff, v17
	s_mov_b32 s0, exec_lo
	s_delay_alu instid0(VALU_DEP_1)
	v_cmpx_gt_u64_e32 0x43e00001, v[20:21]
	s_xor_b32 s15, exec_lo, s0
	s_cbranch_execz .LBB0_154
; %bb.143:                              ;   in Loop: Header=BB0_29 Depth=1
	v_mov_b32_e32 v18, 0
	s_mov_b32 s16, exec_lo
	v_cmpx_ne_u32_e32 0, v17
	s_cbranch_execz .LBB0_153
; %bb.144:                              ;   in Loop: Header=BB0_29 Depth=1
	v_bfe_u32 v22, v17, 23, 8
	s_delay_alu instid0(VALU_DEP_1) | instskip(SKIP_2) | instid1(VALU_DEP_3)
	v_sub_nc_u32_e64 v17, 0x79, v22 clamp
	v_cmp_eq_u32_e32 vcc_lo, 0, v22
	v_add_nc_u32_e32 v22, 0xffffff88, v22
	v_cndmask_b32_e64 v25, v17, 0x78, vcc_lo
	v_or_b32_e32 v17, 0x800000, v33
	s_delay_alu instid0(VALU_DEP_2) | instskip(NEXT) | instid1(VALU_DEP_2)
	v_add_nc_u32_e32 v18, 20, v25
	v_cndmask_b32_e32 v33, v17, v33, vcc_lo
	v_add_nc_u32_e32 v20, 19, v25
	s_delay_alu instid0(VALU_DEP_3) | instskip(NEXT) | instid1(VALU_DEP_3)
	v_lshlrev_b64 v[17:18], v18, -1
	v_lshrrev_b64 v[23:24], v25, v[33:34]
	s_delay_alu instid0(VALU_DEP_2) | instskip(NEXT) | instid1(VALU_DEP_3)
	v_not_b32_e32 v21, v18
	v_not_b32_e32 v26, v17
	v_lshlrev_b64 v[17:18], v20, 1
	s_delay_alu instid0(VALU_DEP_3) | instskip(NEXT) | instid1(VALU_DEP_3)
	v_and_b32_e32 v21, 0, v21
	v_and_b32_e32 v20, v33, v26
	;; [unrolled: 1-line block ×3, first 2 shown]
	s_delay_alu instid0(VALU_DEP_2) | instskip(NEXT) | instid1(VALU_DEP_2)
	v_cmp_eq_u64_e64 s0, v[20:21], v[17:18]
	v_cmp_eq_u64_e64 s1, 0, v[33:34]
	v_cndmask_b32_e64 v17, v22, 0xffffff89, vcc_lo
	v_lshrrev_b32_e32 v18, 23, v23
	s_delay_alu instid0(VALU_DEP_3) | instskip(NEXT) | instid1(VALU_DEP_1)
	s_and_b32 vcc_lo, s1, s0
	v_add3_u32 v21, v17, v25, v18
	v_subrev_co_ci_u32_e32 v20, vcc_lo, 0, v23, vcc_lo
	s_mov_b32 s0, exec_lo
	s_delay_alu instid0(VALU_DEP_2) | instskip(NEXT) | instid1(VALU_DEP_2)
	v_add_nc_u32_e32 v22, -1, v21
	v_and_b32_e32 v17, 0xfffff, v20
                                        ; implicit-def: $vgpr20
	s_delay_alu instid0(VALU_DEP_1) | instskip(SKIP_1) | instid1(VALU_DEP_4)
	v_add_co_u32 v17, vcc_lo, v17, v23
	v_add_co_ci_u32_e32 v18, vcc_lo, 0, v24, vcc_lo
	v_cmpx_ne_u32_e32 0, v22
	s_xor_b32 s0, exec_lo, s0
; %bb.145:                              ;   in Loop: Header=BB0_29 Depth=1
	s_delay_alu instid0(VALU_DEP_3) | instskip(SKIP_1) | instid1(VALU_DEP_2)
	v_and_b32_e32 v33, 0x1000000, v17
	v_bfe_u32 v20, v17, 24, 1
	v_cmp_eq_u64_e32 vcc_lo, 0, v[33:34]
	s_delay_alu instid0(VALU_DEP_2)
	v_lshrrev_b64 v[17:18], v20, v[17:18]
	v_cndmask_b32_e32 v20, v21, v22, vcc_lo
; %bb.146:                              ;   in Loop: Header=BB0_29 Depth=1
	s_and_not1_saveexec_b32 s0, s0
; %bb.147:                              ;   in Loop: Header=BB0_29 Depth=1
	s_delay_alu instid0(VALU_DEP_2)
	v_bfe_u32 v20, v17, 23, 1
; %bb.148:                              ;   in Loop: Header=BB0_29 Depth=1
	s_or_b32 exec_lo, exec_lo, s0
	s_delay_alu instid0(VALU_DEP_3) | instskip(NEXT) | instid1(VALU_DEP_2)
	v_lshrrev_b64 v[17:18], 20, v[17:18]
	v_cmp_gt_i32_e32 vcc_lo, 16, v20
	v_cmp_ne_u32_e64 s0, 0, v20
	s_delay_alu instid0(VALU_DEP_3) | instskip(NEXT) | instid1(VALU_DEP_1)
	v_dual_cndmask_b32 v18, 0, v18 :: v_dual_cndmask_b32 v17, 7, v17
	v_cmp_ne_u64_e32 vcc_lo, 0, v[17:18]
                                        ; implicit-def: $vgpr18
	s_delay_alu instid0(VALU_DEP_3) | instskip(NEXT) | instid1(SALU_CYCLE_1)
	s_or_b32 s0, s0, vcc_lo
	s_and_saveexec_b32 s1, s0
	s_delay_alu instid0(SALU_CYCLE_1)
	s_xor_b32 s0, exec_lo, s1
; %bb.149:                              ;   in Loop: Header=BB0_29 Depth=1
	v_min_i32_e32 v18, 15, v20
	s_delay_alu instid0(VALU_DEP_1) | instskip(NEXT) | instid1(VALU_DEP_1)
	v_lshl_or_b32 v18, v18, 3, v19
                                        ; implicit-def: $vgpr19
	v_and_or_b32 v18, v17, 7, v18
; %bb.150:                              ;   in Loop: Header=BB0_29 Depth=1
	s_and_not1_saveexec_b32 s0, s0
; %bb.151:                              ;   in Loop: Header=BB0_29 Depth=1
	v_mov_b32_e32 v18, v19
; %bb.152:                              ;   in Loop: Header=BB0_29 Depth=1
	s_or_b32 exec_lo, exec_lo, s0
.LBB0_153:                              ;   in Loop: Header=BB0_29 Depth=1
	s_delay_alu instid0(SALU_CYCLE_1)
	s_or_b32 exec_lo, exec_lo, s16
.LBB0_154:                              ;   in Loop: Header=BB0_29 Depth=1
	s_and_not1_saveexec_b32 s0, s15
	s_delay_alu instid0(SALU_CYCLE_1)
	s_or_b32 exec_lo, exec_lo, s0
                                        ; implicit-def: $vgpr20
.LBB0_155:                              ;   in Loop: Header=BB0_29 Depth=1
	s_and_not1_saveexec_b32 s0, s14
; %bb.156:                              ;   in Loop: Header=BB0_29 Depth=1
	v_cmp_eq_u64_e32 vcc_lo, 0, v[33:34]
	v_or_b32_e32 v17, 0x7f, v20
	s_delay_alu instid0(VALU_DEP_1)
	v_cndmask_b32_e32 v18, v17, v18, vcc_lo
; %bb.157:                              ;   in Loop: Header=BB0_29 Depth=1
	s_or_b32 exec_lo, exec_lo, s0
	s_waitcnt vmcnt(2)
	v_dual_mul_f32 v9, v9, v37 :: v_dual_mov_b32 v20, v34
	v_add_nc_u32_e32 v21, 7, v38
	s_waitcnt vmcnt(0)
	s_delay_alu instid0(VALU_DEP_2) | instskip(SKIP_2) | instid1(VALU_DEP_1)
	v_mul_f32_e32 v9, v9, v13
	global_store_b8 v21, v18, s[2:3]
	v_mul_f32_e32 v9, v39, v9
	v_minmax_f32 v13, v9, s13, 0xc3e00000
	s_delay_alu instid0(VALU_DEP_1) | instskip(SKIP_2) | instid1(VALU_DEP_3)
	v_lshrrev_b32_e32 v17, 24, v13
	v_and_b32_e32 v19, 0x7f800000, v13
	v_and_b32_e32 v33, 0x7fffff, v13
	;; [unrolled: 1-line block ×3, first 2 shown]
	s_delay_alu instid0(VALU_DEP_3) | instskip(NEXT) | instid1(VALU_DEP_2)
	v_cmp_ne_u64_e32 vcc_lo, 0x7f800000, v[19:20]
	v_or_b32_e32 v19, 0x7e, v9
	s_and_saveexec_b32 s0, vcc_lo
	s_delay_alu instid0(SALU_CYCLE_1)
	s_xor_b32 s14, exec_lo, s0
	s_cbranch_execz .LBB0_171
; %bb.158:                              ;   in Loop: Header=BB0_29 Depth=1
	v_dual_mov_b32 v18, v34 :: v_dual_and_b32 v17, 0x7fffffff, v13
	s_mov_b32 s0, exec_lo
	s_delay_alu instid0(VALU_DEP_1)
	v_cmpx_gt_u64_e32 0x43e00001, v[17:18]
	s_xor_b32 s15, exec_lo, s0
	s_cbranch_execz .LBB0_170
; %bb.159:                              ;   in Loop: Header=BB0_29 Depth=1
	v_mov_b32_e32 v19, 0
	s_mov_b32 s16, exec_lo
	v_cmpx_ne_u32_e32 0, v13
	s_cbranch_execz .LBB0_169
; %bb.160:                              ;   in Loop: Header=BB0_29 Depth=1
	v_bfe_u32 v13, v13, 23, 8
	s_delay_alu instid0(VALU_DEP_1) | instskip(SKIP_2) | instid1(VALU_DEP_3)
	v_sub_nc_u32_e64 v17, 0x79, v13 clamp
	v_cmp_eq_u32_e32 vcc_lo, 0, v13
	v_add_nc_u32_e32 v13, 0xffffff88, v13
	v_cndmask_b32_e64 v23, v17, 0x78, vcc_lo
	v_or_b32_e32 v17, 0x800000, v33
	s_delay_alu instid0(VALU_DEP_3) | instskip(NEXT) | instid1(VALU_DEP_2)
	v_cndmask_b32_e64 v13, v13, 0xffffff89, vcc_lo
	v_dual_cndmask_b32 v33, v17, v33 :: v_dual_add_nc_u32 v18, 20, v23
	v_add_nc_u32_e32 v19, 19, v23
	s_delay_alu instid0(VALU_DEP_2) | instskip(NEXT) | instid1(VALU_DEP_3)
	v_lshlrev_b64 v[17:18], v18, -1
	v_lshrrev_b64 v[21:22], v23, v[33:34]
	s_delay_alu instid0(VALU_DEP_2) | instskip(NEXT) | instid1(VALU_DEP_3)
	v_not_b32_e32 v20, v18
	v_not_b32_e32 v24, v17
	v_lshlrev_b64 v[17:18], v19, 1
	s_delay_alu instid0(VALU_DEP_3) | instskip(NEXT) | instid1(VALU_DEP_3)
	v_and_b32_e32 v20, 0, v20
	v_and_b32_e32 v19, v33, v24
	;; [unrolled: 1-line block ×3, first 2 shown]
	s_delay_alu instid0(VALU_DEP_2) | instskip(NEXT) | instid1(VALU_DEP_2)
	v_cmp_eq_u64_e64 s0, v[19:20], v[17:18]
	v_cmp_eq_u64_e64 s1, 0, v[33:34]
	v_lshrrev_b32_e32 v17, 23, v21
	s_delay_alu instid0(VALU_DEP_1) | instskip(NEXT) | instid1(VALU_DEP_3)
	v_add3_u32 v19, v13, v23, v17
	s_and_b32 vcc_lo, s1, s0
	s_mov_b32 s0, exec_lo
	v_subrev_co_ci_u32_e32 v18, vcc_lo, 0, v21, vcc_lo
	s_delay_alu instid0(VALU_DEP_2) | instskip(NEXT) | instid1(VALU_DEP_2)
	v_add_nc_u32_e32 v20, -1, v19
	v_and_b32_e32 v13, 0xfffff, v18
	s_delay_alu instid0(VALU_DEP_1) | instskip(SKIP_1) | instid1(VALU_DEP_4)
	v_add_co_u32 v17, vcc_lo, v13, v21
	v_add_co_ci_u32_e32 v18, vcc_lo, 0, v22, vcc_lo
                                        ; implicit-def: $vgpr13
	v_cmpx_ne_u32_e32 0, v20
	s_xor_b32 s0, exec_lo, s0
; %bb.161:                              ;   in Loop: Header=BB0_29 Depth=1
	s_delay_alu instid0(VALU_DEP_3) | instskip(SKIP_1) | instid1(VALU_DEP_2)
	v_and_b32_e32 v33, 0x1000000, v17
	v_bfe_u32 v13, v17, 24, 1
	v_cmp_eq_u64_e32 vcc_lo, 0, v[33:34]
	s_delay_alu instid0(VALU_DEP_2)
	v_lshrrev_b64 v[17:18], v13, v[17:18]
	v_cndmask_b32_e32 v13, v19, v20, vcc_lo
; %bb.162:                              ;   in Loop: Header=BB0_29 Depth=1
	s_and_not1_saveexec_b32 s0, s0
; %bb.163:                              ;   in Loop: Header=BB0_29 Depth=1
	s_delay_alu instid0(VALU_DEP_2)
	v_bfe_u32 v13, v17, 23, 1
; %bb.164:                              ;   in Loop: Header=BB0_29 Depth=1
	s_or_b32 exec_lo, exec_lo, s0
	s_delay_alu instid0(VALU_DEP_3) | instskip(NEXT) | instid1(VALU_DEP_2)
	v_lshrrev_b64 v[17:18], 20, v[17:18]
	v_cmp_gt_i32_e32 vcc_lo, 16, v13
	v_cmp_ne_u32_e64 s0, 0, v13
                                        ; implicit-def: $vgpr19
	s_delay_alu instid0(VALU_DEP_3) | instskip(NEXT) | instid1(VALU_DEP_1)
	v_dual_cndmask_b32 v18, 0, v18 :: v_dual_cndmask_b32 v17, 7, v17
	v_cmp_ne_u64_e32 vcc_lo, 0, v[17:18]
	s_delay_alu instid0(VALU_DEP_3) | instskip(NEXT) | instid1(SALU_CYCLE_1)
	s_or_b32 s0, s0, vcc_lo
	s_and_saveexec_b32 s1, s0
	s_delay_alu instid0(SALU_CYCLE_1)
	s_xor_b32 s0, exec_lo, s1
; %bb.165:                              ;   in Loop: Header=BB0_29 Depth=1
	v_min_i32_e32 v13, 15, v13
	s_delay_alu instid0(VALU_DEP_1) | instskip(NEXT) | instid1(VALU_DEP_1)
	v_lshl_or_b32 v9, v13, 3, v9
	v_and_or_b32 v19, v17, 7, v9
                                        ; implicit-def: $vgpr9
; %bb.166:                              ;   in Loop: Header=BB0_29 Depth=1
	s_and_not1_saveexec_b32 s0, s0
; %bb.167:                              ;   in Loop: Header=BB0_29 Depth=1
	v_mov_b32_e32 v19, v9
; %bb.168:                              ;   in Loop: Header=BB0_29 Depth=1
	s_or_b32 exec_lo, exec_lo, s0
.LBB0_169:                              ;   in Loop: Header=BB0_29 Depth=1
	s_delay_alu instid0(SALU_CYCLE_1)
	s_or_b32 exec_lo, exec_lo, s16
.LBB0_170:                              ;   in Loop: Header=BB0_29 Depth=1
	s_and_not1_saveexec_b32 s0, s15
	s_delay_alu instid0(SALU_CYCLE_1)
	s_or_b32 exec_lo, exec_lo, s0
                                        ; implicit-def: $vgpr17
.LBB0_171:                              ;   in Loop: Header=BB0_29 Depth=1
	s_and_not1_saveexec_b32 s0, s14
; %bb.172:                              ;   in Loop: Header=BB0_29 Depth=1
	v_cmp_eq_u64_e32 vcc_lo, 0, v[33:34]
	v_or_b32_e32 v9, 0x7f, v17
	s_delay_alu instid0(VALU_DEP_1)
	v_cndmask_b32_e32 v19, v9, v19, vcc_lo
; %bb.173:                              ;   in Loop: Header=BB0_29 Depth=1
	s_or_b32 exec_lo, exec_lo, s0
	v_dual_mul_f32 v9, v10, v37 :: v_dual_add_nc_u32 v20, 8, v38
	s_mov_b32 s0, exec_lo
	s_delay_alu instid0(VALU_DEP_1) | instskip(SKIP_2) | instid1(VALU_DEP_1)
	v_dual_mov_b32 v18, v34 :: v_dual_mul_f32 v9, v9, v14
	global_store_b8 v20, v19, s[2:3]
	v_mul_f32_e32 v9, v39, v9
	v_minmax_f32 v9, v9, s13, 0xc3e00000
	s_delay_alu instid0(VALU_DEP_1) | instskip(SKIP_2) | instid1(VALU_DEP_3)
	v_lshrrev_b32_e32 v14, 24, v9
	v_and_b32_e32 v17, 0x7f800000, v9
	v_and_b32_e32 v33, 0x7fffff, v9
	;; [unrolled: 1-line block ×3, first 2 shown]
	s_delay_alu instid0(VALU_DEP_1) | instskip(NEXT) | instid1(VALU_DEP_4)
	v_or_b32_e32 v10, 0x7e, v13
	v_cmpx_ne_u64_e32 0x7f800000, v[17:18]
	s_xor_b32 s14, exec_lo, s0
	s_cbranch_execz .LBB0_187
; %bb.174:                              ;   in Loop: Header=BB0_29 Depth=1
	v_dual_mov_b32 v18, v34 :: v_dual_and_b32 v17, 0x7fffffff, v9
	s_mov_b32 s0, exec_lo
	s_delay_alu instid0(VALU_DEP_1)
	v_cmpx_gt_u64_e32 0x43e00001, v[17:18]
	s_xor_b32 s15, exec_lo, s0
	s_cbranch_execz .LBB0_186
; %bb.175:                              ;   in Loop: Header=BB0_29 Depth=1
	v_mov_b32_e32 v10, 0
	s_mov_b32 s16, exec_lo
	v_cmpx_ne_u32_e32 0, v9
	s_cbranch_execz .LBB0_185
; %bb.176:                              ;   in Loop: Header=BB0_29 Depth=1
	v_bfe_u32 v14, v9, 23, 8
	s_delay_alu instid0(VALU_DEP_1) | instskip(SKIP_2) | instid1(VALU_DEP_3)
	v_sub_nc_u32_e64 v9, 0x79, v14 clamp
	v_cmp_eq_u32_e32 vcc_lo, 0, v14
	v_add_nc_u32_e32 v14, 0xffffff88, v14
	v_cndmask_b32_e64 v21, v9, 0x78, vcc_lo
	v_or_b32_e32 v9, 0x800000, v33
	s_delay_alu instid0(VALU_DEP_2) | instskip(NEXT) | instid1(VALU_DEP_2)
	v_add_nc_u32_e32 v10, 20, v21
	v_cndmask_b32_e32 v33, v9, v33, vcc_lo
	v_add_nc_u32_e32 v17, 19, v21
	s_delay_alu instid0(VALU_DEP_3) | instskip(NEXT) | instid1(VALU_DEP_1)
	v_lshlrev_b64 v[9:10], v10, -1
	v_not_b32_e32 v18, v10
	s_delay_alu instid0(VALU_DEP_2) | instskip(NEXT) | instid1(VALU_DEP_4)
	v_not_b32_e32 v22, v9
	v_lshlrev_b64 v[9:10], v17, 1
	s_delay_alu instid0(VALU_DEP_3) | instskip(SKIP_1) | instid1(VALU_DEP_4)
	v_and_b32_e32 v18, 0, v18
	v_lshrrev_b64 v[19:20], v21, v[33:34]
	v_and_b32_e32 v17, v33, v22
	s_delay_alu instid0(VALU_DEP_1) | instskip(NEXT) | instid1(VALU_DEP_3)
	v_cmp_eq_u64_e64 s0, v[17:18], v[9:10]
	v_and_b32_e32 v33, 0x100000, v19
	v_cndmask_b32_e64 v9, v14, 0xffffff89, vcc_lo
	v_lshrrev_b32_e32 v10, 23, v19
	s_delay_alu instid0(VALU_DEP_3) | instskip(NEXT) | instid1(VALU_DEP_2)
	v_cmp_eq_u64_e64 s1, 0, v[33:34]
	v_add3_u32 v17, v9, v21, v10
	s_delay_alu instid0(VALU_DEP_2) | instskip(NEXT) | instid1(VALU_DEP_1)
	s_and_b32 vcc_lo, s1, s0
	v_add_nc_u32_e32 v18, -1, v17
	v_subrev_co_ci_u32_e32 v14, vcc_lo, 0, v19, vcc_lo
	s_mov_b32 s0, exec_lo
	s_delay_alu instid0(VALU_DEP_1) | instskip(NEXT) | instid1(VALU_DEP_1)
	v_and_b32_e32 v9, 0xfffff, v14
                                        ; implicit-def: $vgpr14
	v_add_co_u32 v9, vcc_lo, v9, v19
	v_add_co_ci_u32_e32 v10, vcc_lo, 0, v20, vcc_lo
	v_cmpx_ne_u32_e32 0, v18
	s_xor_b32 s0, exec_lo, s0
; %bb.177:                              ;   in Loop: Header=BB0_29 Depth=1
	s_delay_alu instid0(VALU_DEP_3) | instskip(SKIP_1) | instid1(VALU_DEP_2)
	v_and_b32_e32 v33, 0x1000000, v9
	v_bfe_u32 v14, v9, 24, 1
	v_cmp_eq_u64_e32 vcc_lo, 0, v[33:34]
	s_delay_alu instid0(VALU_DEP_2)
	v_lshrrev_b64 v[9:10], v14, v[9:10]
	v_cndmask_b32_e32 v14, v17, v18, vcc_lo
; %bb.178:                              ;   in Loop: Header=BB0_29 Depth=1
	s_and_not1_saveexec_b32 s0, s0
; %bb.179:                              ;   in Loop: Header=BB0_29 Depth=1
	s_delay_alu instid0(VALU_DEP_2)
	v_bfe_u32 v14, v9, 23, 1
; %bb.180:                              ;   in Loop: Header=BB0_29 Depth=1
	s_or_b32 exec_lo, exec_lo, s0
	s_delay_alu instid0(VALU_DEP_3) | instskip(NEXT) | instid1(VALU_DEP_2)
	v_lshrrev_b64 v[9:10], 20, v[9:10]
	v_cmp_gt_i32_e32 vcc_lo, 16, v14
	v_cmp_ne_u32_e64 s0, 0, v14
	s_delay_alu instid0(VALU_DEP_3) | instskip(NEXT) | instid1(VALU_DEP_1)
	v_dual_cndmask_b32 v10, 0, v10 :: v_dual_cndmask_b32 v9, 7, v9
	v_cmp_ne_u64_e32 vcc_lo, 0, v[9:10]
                                        ; implicit-def: $vgpr10
	s_delay_alu instid0(VALU_DEP_3) | instskip(NEXT) | instid1(SALU_CYCLE_1)
	s_or_b32 s0, s0, vcc_lo
	s_and_saveexec_b32 s1, s0
	s_delay_alu instid0(SALU_CYCLE_1)
	s_xor_b32 s0, exec_lo, s1
; %bb.181:                              ;   in Loop: Header=BB0_29 Depth=1
	v_min_i32_e32 v10, 15, v14
	s_delay_alu instid0(VALU_DEP_1) | instskip(NEXT) | instid1(VALU_DEP_1)
	v_lshl_or_b32 v10, v10, 3, v13
                                        ; implicit-def: $vgpr13
	v_and_or_b32 v10, v9, 7, v10
; %bb.182:                              ;   in Loop: Header=BB0_29 Depth=1
	s_and_not1_saveexec_b32 s0, s0
; %bb.183:                              ;   in Loop: Header=BB0_29 Depth=1
	v_mov_b32_e32 v10, v13
; %bb.184:                              ;   in Loop: Header=BB0_29 Depth=1
	s_or_b32 exec_lo, exec_lo, s0
.LBB0_185:                              ;   in Loop: Header=BB0_29 Depth=1
	s_delay_alu instid0(SALU_CYCLE_1)
	s_or_b32 exec_lo, exec_lo, s16
.LBB0_186:                              ;   in Loop: Header=BB0_29 Depth=1
	s_and_not1_saveexec_b32 s0, s15
	s_delay_alu instid0(SALU_CYCLE_1)
	s_or_b32 exec_lo, exec_lo, s0
                                        ; implicit-def: $vgpr14
.LBB0_187:                              ;   in Loop: Header=BB0_29 Depth=1
	s_and_not1_saveexec_b32 s0, s14
; %bb.188:                              ;   in Loop: Header=BB0_29 Depth=1
	v_cmp_eq_u64_e32 vcc_lo, 0, v[33:34]
	v_or_b32_e32 v9, 0x7f, v14
	s_delay_alu instid0(VALU_DEP_1)
	v_cndmask_b32_e32 v10, v9, v10, vcc_lo
; %bb.189:                              ;   in Loop: Header=BB0_29 Depth=1
	s_or_b32 exec_lo, exec_lo, s0
	v_dual_mul_f32 v9, v11, v37 :: v_dual_mov_b32 v18, v34
	s_mov_b32 s0, exec_lo
	s_delay_alu instid0(VALU_DEP_1) | instskip(SKIP_1) | instid1(VALU_DEP_2)
	v_mul_f32_e32 v9, v9, v15
	v_add_nc_u32_e32 v15, 9, v38
	v_mul_f32_e32 v9, v39, v9
	global_store_b8 v15, v10, s[2:3]
	v_minmax_f32 v9, v9, s13, 0xc3e00000
	s_delay_alu instid0(VALU_DEP_1) | instskip(SKIP_2) | instid1(VALU_DEP_3)
	v_lshrrev_b32_e32 v14, 24, v9
	v_and_b32_e32 v17, 0x7f800000, v9
	v_and_b32_e32 v33, 0x7fffff, v9
	v_and_b32_e32 v11, 0x80, v14
	s_delay_alu instid0(VALU_DEP_1) | instskip(NEXT) | instid1(VALU_DEP_4)
	v_or_b32_e32 v13, 0x7e, v11
	v_cmpx_ne_u64_e32 0x7f800000, v[17:18]
	s_xor_b32 s14, exec_lo, s0
	s_cbranch_execz .LBB0_203
; %bb.190:                              ;   in Loop: Header=BB0_29 Depth=1
	v_dual_mov_b32 v15, v34 :: v_dual_and_b32 v14, 0x7fffffff, v9
	s_mov_b32 s0, exec_lo
	s_delay_alu instid0(VALU_DEP_1)
	v_cmpx_gt_u64_e32 0x43e00001, v[14:15]
	s_xor_b32 s15, exec_lo, s0
	s_cbranch_execz .LBB0_202
; %bb.191:                              ;   in Loop: Header=BB0_29 Depth=1
	v_mov_b32_e32 v13, 0
	s_mov_b32 s16, exec_lo
	v_cmpx_ne_u32_e32 0, v9
	s_cbranch_execz .LBB0_201
; %bb.192:                              ;   in Loop: Header=BB0_29 Depth=1
	v_bfe_u32 v15, v9, 23, 8
	s_delay_alu instid0(VALU_DEP_1) | instskip(SKIP_2) | instid1(VALU_DEP_3)
	v_sub_nc_u32_e64 v9, 0x79, v15 clamp
	v_cmp_eq_u32_e32 vcc_lo, 0, v15
	v_add_nc_u32_e32 v15, 0xffffff88, v15
	v_cndmask_b32_e64 v19, v9, 0x78, vcc_lo
	v_or_b32_e32 v9, 0x800000, v33
	s_delay_alu instid0(VALU_DEP_1) | instskip(SKIP_1) | instid1(VALU_DEP_2)
	v_dual_cndmask_b32 v33, v9, v33 :: v_dual_add_nc_u32 v10, 20, v19
	v_add_nc_u32_e32 v13, 19, v19
	v_lshlrev_b64 v[9:10], v10, -1
	s_delay_alu instid0(VALU_DEP_3) | instskip(NEXT) | instid1(VALU_DEP_2)
	v_lshrrev_b64 v[17:18], v19, v[33:34]
	v_not_b32_e32 v14, v10
	s_delay_alu instid0(VALU_DEP_3) | instskip(SKIP_1) | instid1(VALU_DEP_3)
	v_not_b32_e32 v20, v9
	v_lshlrev_b64 v[9:10], v13, 1
	v_and_b32_e32 v14, 0, v14
	s_delay_alu instid0(VALU_DEP_3) | instskip(SKIP_1) | instid1(VALU_DEP_2)
	v_and_b32_e32 v13, v33, v20
	v_and_b32_e32 v33, 0x100000, v17
	v_cmp_eq_u64_e64 s0, v[13:14], v[9:10]
	s_delay_alu instid0(VALU_DEP_2) | instskip(SKIP_2) | instid1(VALU_DEP_3)
	v_cmp_eq_u64_e64 s1, 0, v[33:34]
	v_cndmask_b32_e64 v9, v15, 0xffffff89, vcc_lo
	v_lshrrev_b32_e32 v10, 23, v17
	s_and_b32 vcc_lo, s1, s0
	s_delay_alu instid0(VALU_DEP_1) | instskip(SKIP_2) | instid1(VALU_DEP_2)
	v_add3_u32 v13, v9, v19, v10
	v_subrev_co_ci_u32_e32 v14, vcc_lo, 0, v17, vcc_lo
	s_mov_b32 s0, exec_lo
	v_add_nc_u32_e32 v15, -1, v13
	s_delay_alu instid0(VALU_DEP_2) | instskip(NEXT) | instid1(VALU_DEP_1)
	v_and_b32_e32 v9, 0xfffff, v14
                                        ; implicit-def: $vgpr14
	v_add_co_u32 v9, vcc_lo, v9, v17
	v_add_co_ci_u32_e32 v10, vcc_lo, 0, v18, vcc_lo
	s_delay_alu instid0(VALU_DEP_4)
	v_cmpx_ne_u32_e32 0, v15
	s_xor_b32 s0, exec_lo, s0
; %bb.193:                              ;   in Loop: Header=BB0_29 Depth=1
	s_delay_alu instid0(VALU_DEP_3) | instskip(SKIP_1) | instid1(VALU_DEP_2)
	v_and_b32_e32 v33, 0x1000000, v9
	v_bfe_u32 v14, v9, 24, 1
	v_cmp_eq_u64_e32 vcc_lo, 0, v[33:34]
	s_delay_alu instid0(VALU_DEP_2)
	v_lshrrev_b64 v[9:10], v14, v[9:10]
	v_cndmask_b32_e32 v14, v13, v15, vcc_lo
; %bb.194:                              ;   in Loop: Header=BB0_29 Depth=1
	s_and_not1_saveexec_b32 s0, s0
; %bb.195:                              ;   in Loop: Header=BB0_29 Depth=1
	s_delay_alu instid0(VALU_DEP_2)
	v_bfe_u32 v14, v9, 23, 1
; %bb.196:                              ;   in Loop: Header=BB0_29 Depth=1
	s_or_b32 exec_lo, exec_lo, s0
	s_delay_alu instid0(VALU_DEP_3) | instskip(NEXT) | instid1(VALU_DEP_2)
	v_lshrrev_b64 v[9:10], 20, v[9:10]
	v_cmp_gt_i32_e32 vcc_lo, 16, v14
	v_cmp_ne_u32_e64 s0, 0, v14
                                        ; implicit-def: $vgpr13
	s_delay_alu instid0(VALU_DEP_3) | instskip(NEXT) | instid1(VALU_DEP_1)
	v_dual_cndmask_b32 v10, 0, v10 :: v_dual_cndmask_b32 v9, 7, v9
	v_cmp_ne_u64_e32 vcc_lo, 0, v[9:10]
	s_delay_alu instid0(VALU_DEP_3) | instskip(NEXT) | instid1(SALU_CYCLE_1)
	s_or_b32 s0, s0, vcc_lo
	s_and_saveexec_b32 s1, s0
	s_delay_alu instid0(SALU_CYCLE_1)
	s_xor_b32 s0, exec_lo, s1
; %bb.197:                              ;   in Loop: Header=BB0_29 Depth=1
	v_min_i32_e32 v10, 15, v14
	s_delay_alu instid0(VALU_DEP_1) | instskip(NEXT) | instid1(VALU_DEP_1)
	v_lshl_or_b32 v10, v10, 3, v11
                                        ; implicit-def: $vgpr11
	v_and_or_b32 v13, v9, 7, v10
; %bb.198:                              ;   in Loop: Header=BB0_29 Depth=1
	s_and_not1_saveexec_b32 s0, s0
; %bb.199:                              ;   in Loop: Header=BB0_29 Depth=1
	v_mov_b32_e32 v13, v11
; %bb.200:                              ;   in Loop: Header=BB0_29 Depth=1
	s_or_b32 exec_lo, exec_lo, s0
.LBB0_201:                              ;   in Loop: Header=BB0_29 Depth=1
	s_delay_alu instid0(SALU_CYCLE_1)
	s_or_b32 exec_lo, exec_lo, s16
.LBB0_202:                              ;   in Loop: Header=BB0_29 Depth=1
	s_and_not1_saveexec_b32 s0, s15
	s_delay_alu instid0(SALU_CYCLE_1)
	s_or_b32 exec_lo, exec_lo, s0
                                        ; implicit-def: $vgpr14
.LBB0_203:                              ;   in Loop: Header=BB0_29 Depth=1
	s_and_not1_saveexec_b32 s0, s14
; %bb.204:                              ;   in Loop: Header=BB0_29 Depth=1
	v_cmp_eq_u64_e32 vcc_lo, 0, v[33:34]
	v_or_b32_e32 v9, 0x7f, v14
	s_delay_alu instid0(VALU_DEP_1)
	v_cndmask_b32_e32 v13, v9, v13, vcc_lo
; %bb.205:                              ;   in Loop: Header=BB0_29 Depth=1
	s_or_b32 exec_lo, exec_lo, s0
	v_mul_f32_e32 v9, v12, v37
	s_mov_b32 s0, exec_lo
	v_mov_b32_e32 v15, v34
	s_delay_alu instid0(VALU_DEP_2) | instskip(NEXT) | instid1(VALU_DEP_1)
	v_dual_mul_f32 v9, v9, v16 :: v_dual_add_nc_u32 v16, 10, v38
	v_mul_f32_e32 v9, v39, v9
	global_store_b8 v16, v13, s[2:3]
	v_minmax_f32 v9, v9, s13, 0xc3e00000
	s_delay_alu instid0(VALU_DEP_1) | instskip(SKIP_2) | instid1(VALU_DEP_3)
	v_lshrrev_b32_e32 v12, 24, v9
	v_and_b32_e32 v14, 0x7f800000, v9
	v_and_b32_e32 v33, 0x7fffff, v9
	;; [unrolled: 1-line block ×3, first 2 shown]
	s_delay_alu instid0(VALU_DEP_1) | instskip(NEXT) | instid1(VALU_DEP_4)
	v_or_b32_e32 v10, 0x7e, v11
	v_cmpx_ne_u64_e32 0x7f800000, v[14:15]
	s_xor_b32 s14, exec_lo, s0
	s_cbranch_execz .LBB0_219
; %bb.206:                              ;   in Loop: Header=BB0_29 Depth=1
	v_dual_mov_b32 v13, v34 :: v_dual_and_b32 v12, 0x7fffffff, v9
	s_mov_b32 s0, exec_lo
	s_delay_alu instid0(VALU_DEP_1)
	v_cmpx_gt_u64_e32 0x43e00001, v[12:13]
	s_xor_b32 s15, exec_lo, s0
	s_cbranch_execz .LBB0_218
; %bb.207:                              ;   in Loop: Header=BB0_29 Depth=1
	v_mov_b32_e32 v10, 0
	s_mov_b32 s16, exec_lo
	v_cmpx_ne_u32_e32 0, v9
	s_cbranch_execz .LBB0_217
; %bb.208:                              ;   in Loop: Header=BB0_29 Depth=1
	v_bfe_u32 v14, v9, 23, 8
	s_delay_alu instid0(VALU_DEP_1) | instskip(SKIP_2) | instid1(VALU_DEP_3)
	v_sub_nc_u32_e64 v9, 0x79, v14 clamp
	v_cmp_eq_u32_e32 vcc_lo, 0, v14
	v_add_nc_u32_e32 v14, 0xffffff88, v14
	v_cndmask_b32_e64 v17, v9, 0x78, vcc_lo
	v_or_b32_e32 v9, 0x800000, v33
	s_delay_alu instid0(VALU_DEP_2) | instskip(NEXT) | instid1(VALU_DEP_2)
	v_add_nc_u32_e32 v10, 20, v17
	v_cndmask_b32_e32 v33, v9, v33, vcc_lo
	v_add_nc_u32_e32 v12, 19, v17
	s_delay_alu instid0(VALU_DEP_3) | instskip(NEXT) | instid1(VALU_DEP_3)
	v_lshlrev_b64 v[9:10], v10, -1
	v_lshrrev_b64 v[15:16], v17, v[33:34]
	s_delay_alu instid0(VALU_DEP_2) | instskip(NEXT) | instid1(VALU_DEP_3)
	v_not_b32_e32 v13, v10
	v_not_b32_e32 v18, v9
	v_lshlrev_b64 v[9:10], v12, 1
	s_delay_alu instid0(VALU_DEP_3) | instskip(NEXT) | instid1(VALU_DEP_3)
	v_and_b32_e32 v13, 0, v13
	v_and_b32_e32 v12, v33, v18
	;; [unrolled: 1-line block ×3, first 2 shown]
	s_delay_alu instid0(VALU_DEP_2) | instskip(NEXT) | instid1(VALU_DEP_2)
	v_cmp_eq_u64_e64 s0, v[12:13], v[9:10]
	v_cmp_eq_u64_e64 s1, 0, v[33:34]
	v_cndmask_b32_e64 v9, v14, 0xffffff89, vcc_lo
	v_lshrrev_b32_e32 v10, 23, v15
	s_delay_alu instid0(VALU_DEP_3) | instskip(NEXT) | instid1(VALU_DEP_1)
	s_and_b32 vcc_lo, s1, s0
	v_add3_u32 v13, v9, v17, v10
	v_subrev_co_ci_u32_e32 v12, vcc_lo, 0, v15, vcc_lo
	s_mov_b32 s0, exec_lo
	s_delay_alu instid0(VALU_DEP_2) | instskip(NEXT) | instid1(VALU_DEP_2)
	v_add_nc_u32_e32 v14, -1, v13
	v_and_b32_e32 v9, 0xfffff, v12
                                        ; implicit-def: $vgpr12
	s_delay_alu instid0(VALU_DEP_1) | instskip(SKIP_1) | instid1(VALU_DEP_4)
	v_add_co_u32 v9, vcc_lo, v9, v15
	v_add_co_ci_u32_e32 v10, vcc_lo, 0, v16, vcc_lo
	v_cmpx_ne_u32_e32 0, v14
	s_xor_b32 s0, exec_lo, s0
; %bb.209:                              ;   in Loop: Header=BB0_29 Depth=1
	s_delay_alu instid0(VALU_DEP_3) | instskip(SKIP_1) | instid1(VALU_DEP_2)
	v_and_b32_e32 v33, 0x1000000, v9
	v_bfe_u32 v12, v9, 24, 1
	v_cmp_eq_u64_e32 vcc_lo, 0, v[33:34]
	s_delay_alu instid0(VALU_DEP_2)
	v_lshrrev_b64 v[9:10], v12, v[9:10]
	v_cndmask_b32_e32 v12, v13, v14, vcc_lo
; %bb.210:                              ;   in Loop: Header=BB0_29 Depth=1
	s_and_not1_saveexec_b32 s0, s0
; %bb.211:                              ;   in Loop: Header=BB0_29 Depth=1
	s_delay_alu instid0(VALU_DEP_2)
	v_bfe_u32 v12, v9, 23, 1
; %bb.212:                              ;   in Loop: Header=BB0_29 Depth=1
	s_or_b32 exec_lo, exec_lo, s0
	s_delay_alu instid0(VALU_DEP_3) | instskip(NEXT) | instid1(VALU_DEP_2)
	v_lshrrev_b64 v[9:10], 20, v[9:10]
	v_cmp_gt_i32_e32 vcc_lo, 16, v12
	v_cmp_ne_u32_e64 s0, 0, v12
	s_delay_alu instid0(VALU_DEP_3) | instskip(NEXT) | instid1(VALU_DEP_1)
	v_dual_cndmask_b32 v10, 0, v10 :: v_dual_cndmask_b32 v9, 7, v9
	v_cmp_ne_u64_e32 vcc_lo, 0, v[9:10]
                                        ; implicit-def: $vgpr10
	s_delay_alu instid0(VALU_DEP_3) | instskip(NEXT) | instid1(SALU_CYCLE_1)
	s_or_b32 s0, s0, vcc_lo
	s_and_saveexec_b32 s1, s0
	s_delay_alu instid0(SALU_CYCLE_1)
	s_xor_b32 s0, exec_lo, s1
; %bb.213:                              ;   in Loop: Header=BB0_29 Depth=1
	v_min_i32_e32 v10, 15, v12
	s_delay_alu instid0(VALU_DEP_1) | instskip(NEXT) | instid1(VALU_DEP_1)
	v_lshl_or_b32 v10, v10, 3, v11
                                        ; implicit-def: $vgpr11
	v_and_or_b32 v10, v9, 7, v10
; %bb.214:                              ;   in Loop: Header=BB0_29 Depth=1
	s_and_not1_saveexec_b32 s0, s0
; %bb.215:                              ;   in Loop: Header=BB0_29 Depth=1
	v_mov_b32_e32 v10, v11
; %bb.216:                              ;   in Loop: Header=BB0_29 Depth=1
	s_or_b32 exec_lo, exec_lo, s0
.LBB0_217:                              ;   in Loop: Header=BB0_29 Depth=1
	s_delay_alu instid0(SALU_CYCLE_1)
	s_or_b32 exec_lo, exec_lo, s16
.LBB0_218:                              ;   in Loop: Header=BB0_29 Depth=1
	s_and_not1_saveexec_b32 s0, s15
	s_delay_alu instid0(SALU_CYCLE_1)
	s_or_b32 exec_lo, exec_lo, s0
                                        ; implicit-def: $vgpr12
.LBB0_219:                              ;   in Loop: Header=BB0_29 Depth=1
	s_and_not1_saveexec_b32 s0, s14
; %bb.220:                              ;   in Loop: Header=BB0_29 Depth=1
	v_cmp_eq_u64_e32 vcc_lo, 0, v[33:34]
	v_or_b32_e32 v9, 0x7f, v12
	s_delay_alu instid0(VALU_DEP_1)
	v_cndmask_b32_e32 v10, v9, v10, vcc_lo
; %bb.221:                              ;   in Loop: Header=BB0_29 Depth=1
	s_or_b32 exec_lo, exec_lo, s0
	v_dual_mul_f32 v1, v1, v37 :: v_dual_mov_b32 v12, v34
	v_add_nc_u32_e32 v13, 11, v38
	s_delay_alu instid0(VALU_DEP_2) | instskip(SKIP_2) | instid1(VALU_DEP_1)
	v_mul_f32_e32 v1, v1, v5
	global_store_b8 v13, v10, s[2:3]
	v_mul_f32_e32 v1, v39, v1
	v_minmax_f32 v5, v1, s13, 0xc3e00000
	s_delay_alu instid0(VALU_DEP_1) | instskip(SKIP_2) | instid1(VALU_DEP_3)
	v_lshrrev_b32_e32 v9, 24, v5
	v_and_b32_e32 v11, 0x7f800000, v5
	v_and_b32_e32 v33, 0x7fffff, v5
	;; [unrolled: 1-line block ×3, first 2 shown]
	s_delay_alu instid0(VALU_DEP_3) | instskip(NEXT) | instid1(VALU_DEP_2)
	v_cmp_ne_u64_e32 vcc_lo, 0x7f800000, v[11:12]
	v_or_b32_e32 v11, 0x7e, v1
	s_and_saveexec_b32 s0, vcc_lo
	s_delay_alu instid0(SALU_CYCLE_1)
	s_xor_b32 s14, exec_lo, s0
	s_cbranch_execz .LBB0_235
; %bb.222:                              ;   in Loop: Header=BB0_29 Depth=1
	v_dual_mov_b32 v10, v34 :: v_dual_and_b32 v9, 0x7fffffff, v5
	s_mov_b32 s0, exec_lo
	s_delay_alu instid0(VALU_DEP_1)
	v_cmpx_gt_u64_e32 0x43e00001, v[9:10]
	s_xor_b32 s15, exec_lo, s0
	s_cbranch_execz .LBB0_234
; %bb.223:                              ;   in Loop: Header=BB0_29 Depth=1
	v_mov_b32_e32 v11, 0
	s_mov_b32 s16, exec_lo
	v_cmpx_ne_u32_e32 0, v5
	s_cbranch_execz .LBB0_233
; %bb.224:                              ;   in Loop: Header=BB0_29 Depth=1
	v_bfe_u32 v5, v5, 23, 8
	s_delay_alu instid0(VALU_DEP_1) | instskip(SKIP_2) | instid1(VALU_DEP_3)
	v_sub_nc_u32_e64 v9, 0x79, v5 clamp
	v_cmp_eq_u32_e32 vcc_lo, 0, v5
	v_add_nc_u32_e32 v5, 0xffffff88, v5
	v_cndmask_b32_e64 v15, v9, 0x78, vcc_lo
	v_or_b32_e32 v9, 0x800000, v33
	s_delay_alu instid0(VALU_DEP_3) | instskip(NEXT) | instid1(VALU_DEP_2)
	v_cndmask_b32_e64 v5, v5, 0xffffff89, vcc_lo
	v_dual_cndmask_b32 v33, v9, v33 :: v_dual_add_nc_u32 v10, 20, v15
	v_add_nc_u32_e32 v11, 19, v15
	s_delay_alu instid0(VALU_DEP_2) | instskip(NEXT) | instid1(VALU_DEP_3)
	v_lshlrev_b64 v[9:10], v10, -1
	v_lshrrev_b64 v[13:14], v15, v[33:34]
	s_delay_alu instid0(VALU_DEP_2) | instskip(NEXT) | instid1(VALU_DEP_3)
	v_not_b32_e32 v12, v10
	v_not_b32_e32 v16, v9
	v_lshlrev_b64 v[9:10], v11, 1
	s_delay_alu instid0(VALU_DEP_3) | instskip(NEXT) | instid1(VALU_DEP_3)
	v_and_b32_e32 v12, 0, v12
	v_and_b32_e32 v11, v33, v16
	;; [unrolled: 1-line block ×3, first 2 shown]
	s_delay_alu instid0(VALU_DEP_2) | instskip(NEXT) | instid1(VALU_DEP_2)
	v_cmp_eq_u64_e64 s0, v[11:12], v[9:10]
	v_cmp_eq_u64_e64 s1, 0, v[33:34]
	v_lshrrev_b32_e32 v9, 23, v13
	s_delay_alu instid0(VALU_DEP_1) | instskip(NEXT) | instid1(VALU_DEP_3)
	v_add3_u32 v11, v5, v15, v9
	s_and_b32 vcc_lo, s1, s0
	s_mov_b32 s0, exec_lo
	v_subrev_co_ci_u32_e32 v10, vcc_lo, 0, v13, vcc_lo
	s_delay_alu instid0(VALU_DEP_2) | instskip(NEXT) | instid1(VALU_DEP_2)
	v_add_nc_u32_e32 v12, -1, v11
	v_and_b32_e32 v5, 0xfffff, v10
	s_delay_alu instid0(VALU_DEP_1) | instskip(SKIP_1) | instid1(VALU_DEP_4)
	v_add_co_u32 v9, vcc_lo, v5, v13
	v_add_co_ci_u32_e32 v10, vcc_lo, 0, v14, vcc_lo
                                        ; implicit-def: $vgpr5
	v_cmpx_ne_u32_e32 0, v12
	s_xor_b32 s0, exec_lo, s0
; %bb.225:                              ;   in Loop: Header=BB0_29 Depth=1
	s_delay_alu instid0(VALU_DEP_3) | instskip(SKIP_1) | instid1(VALU_DEP_2)
	v_and_b32_e32 v33, 0x1000000, v9
	v_bfe_u32 v5, v9, 24, 1
	v_cmp_eq_u64_e32 vcc_lo, 0, v[33:34]
	s_delay_alu instid0(VALU_DEP_2)
	v_lshrrev_b64 v[9:10], v5, v[9:10]
	v_cndmask_b32_e32 v5, v11, v12, vcc_lo
; %bb.226:                              ;   in Loop: Header=BB0_29 Depth=1
	s_and_not1_saveexec_b32 s0, s0
; %bb.227:                              ;   in Loop: Header=BB0_29 Depth=1
	s_delay_alu instid0(VALU_DEP_2)
	v_bfe_u32 v5, v9, 23, 1
; %bb.228:                              ;   in Loop: Header=BB0_29 Depth=1
	s_or_b32 exec_lo, exec_lo, s0
	s_delay_alu instid0(VALU_DEP_3) | instskip(NEXT) | instid1(VALU_DEP_2)
	v_lshrrev_b64 v[9:10], 20, v[9:10]
	v_cmp_gt_i32_e32 vcc_lo, 16, v5
	v_cmp_ne_u32_e64 s0, 0, v5
                                        ; implicit-def: $vgpr11
	s_delay_alu instid0(VALU_DEP_3) | instskip(NEXT) | instid1(VALU_DEP_1)
	v_dual_cndmask_b32 v10, 0, v10 :: v_dual_cndmask_b32 v9, 7, v9
	v_cmp_ne_u64_e32 vcc_lo, 0, v[9:10]
	s_delay_alu instid0(VALU_DEP_3) | instskip(NEXT) | instid1(SALU_CYCLE_1)
	s_or_b32 s0, s0, vcc_lo
	s_and_saveexec_b32 s1, s0
	s_delay_alu instid0(SALU_CYCLE_1)
	s_xor_b32 s0, exec_lo, s1
; %bb.229:                              ;   in Loop: Header=BB0_29 Depth=1
	v_min_i32_e32 v5, 15, v5
	s_delay_alu instid0(VALU_DEP_1) | instskip(NEXT) | instid1(VALU_DEP_1)
	v_lshl_or_b32 v1, v5, 3, v1
	v_and_or_b32 v11, v9, 7, v1
                                        ; implicit-def: $vgpr1
; %bb.230:                              ;   in Loop: Header=BB0_29 Depth=1
	s_and_not1_saveexec_b32 s0, s0
; %bb.231:                              ;   in Loop: Header=BB0_29 Depth=1
	v_mov_b32_e32 v11, v1
; %bb.232:                              ;   in Loop: Header=BB0_29 Depth=1
	s_or_b32 exec_lo, exec_lo, s0
.LBB0_233:                              ;   in Loop: Header=BB0_29 Depth=1
	s_delay_alu instid0(SALU_CYCLE_1)
	s_or_b32 exec_lo, exec_lo, s16
.LBB0_234:                              ;   in Loop: Header=BB0_29 Depth=1
	s_and_not1_saveexec_b32 s0, s15
	s_delay_alu instid0(SALU_CYCLE_1)
	s_or_b32 exec_lo, exec_lo, s0
                                        ; implicit-def: $vgpr9
.LBB0_235:                              ;   in Loop: Header=BB0_29 Depth=1
	s_and_not1_saveexec_b32 s0, s14
; %bb.236:                              ;   in Loop: Header=BB0_29 Depth=1
	v_cmp_eq_u64_e32 vcc_lo, 0, v[33:34]
	v_or_b32_e32 v1, 0x7f, v9
	s_delay_alu instid0(VALU_DEP_1)
	v_cndmask_b32_e32 v11, v1, v11, vcc_lo
; %bb.237:                              ;   in Loop: Header=BB0_29 Depth=1
	s_or_b32 exec_lo, exec_lo, s0
	v_dual_mul_f32 v1, v2, v37 :: v_dual_add_nc_u32 v12, 12, v38
	s_mov_b32 s0, exec_lo
	s_delay_alu instid0(VALU_DEP_1) | instskip(SKIP_2) | instid1(VALU_DEP_1)
	v_dual_mov_b32 v10, v34 :: v_dual_mul_f32 v1, v1, v6
	global_store_b8 v12, v11, s[2:3]
	v_mul_f32_e32 v1, v39, v1
	v_minmax_f32 v1, v1, s13, 0xc3e00000
	s_delay_alu instid0(VALU_DEP_1) | instskip(SKIP_2) | instid1(VALU_DEP_3)
	v_lshrrev_b32_e32 v6, 24, v1
	v_and_b32_e32 v9, 0x7f800000, v1
	v_and_b32_e32 v33, 0x7fffff, v1
	;; [unrolled: 1-line block ×3, first 2 shown]
	s_delay_alu instid0(VALU_DEP_1) | instskip(NEXT) | instid1(VALU_DEP_4)
	v_or_b32_e32 v2, 0x7e, v5
	v_cmpx_ne_u64_e32 0x7f800000, v[9:10]
	s_xor_b32 s14, exec_lo, s0
	s_cbranch_execz .LBB0_251
; %bb.238:                              ;   in Loop: Header=BB0_29 Depth=1
	v_dual_mov_b32 v10, v34 :: v_dual_and_b32 v9, 0x7fffffff, v1
	s_mov_b32 s0, exec_lo
	s_delay_alu instid0(VALU_DEP_1)
	v_cmpx_gt_u64_e32 0x43e00001, v[9:10]
	s_xor_b32 s15, exec_lo, s0
	s_cbranch_execz .LBB0_250
; %bb.239:                              ;   in Loop: Header=BB0_29 Depth=1
	v_mov_b32_e32 v2, 0
	s_mov_b32 s16, exec_lo
	v_cmpx_ne_u32_e32 0, v1
	s_cbranch_execz .LBB0_249
; %bb.240:                              ;   in Loop: Header=BB0_29 Depth=1
	v_bfe_u32 v6, v1, 23, 8
	s_delay_alu instid0(VALU_DEP_1) | instskip(SKIP_2) | instid1(VALU_DEP_3)
	v_sub_nc_u32_e64 v1, 0x79, v6 clamp
	v_cmp_eq_u32_e32 vcc_lo, 0, v6
	v_add_nc_u32_e32 v6, 0xffffff88, v6
	v_cndmask_b32_e64 v13, v1, 0x78, vcc_lo
	v_or_b32_e32 v1, 0x800000, v33
	s_delay_alu instid0(VALU_DEP_2) | instskip(NEXT) | instid1(VALU_DEP_2)
	v_add_nc_u32_e32 v2, 20, v13
	v_cndmask_b32_e32 v33, v1, v33, vcc_lo
	v_add_nc_u32_e32 v9, 19, v13
	s_delay_alu instid0(VALU_DEP_3) | instskip(NEXT) | instid1(VALU_DEP_1)
	v_lshlrev_b64 v[1:2], v2, -1
	v_not_b32_e32 v10, v2
	s_delay_alu instid0(VALU_DEP_2) | instskip(NEXT) | instid1(VALU_DEP_4)
	v_not_b32_e32 v14, v1
	v_lshlrev_b64 v[1:2], v9, 1
	s_delay_alu instid0(VALU_DEP_3) | instskip(SKIP_1) | instid1(VALU_DEP_4)
	v_and_b32_e32 v10, 0, v10
	v_lshrrev_b64 v[11:12], v13, v[33:34]
	v_and_b32_e32 v9, v33, v14
	s_delay_alu instid0(VALU_DEP_1) | instskip(NEXT) | instid1(VALU_DEP_3)
	v_cmp_eq_u64_e64 s0, v[9:10], v[1:2]
	v_and_b32_e32 v33, 0x100000, v11
	v_cndmask_b32_e64 v1, v6, 0xffffff89, vcc_lo
	v_lshrrev_b32_e32 v2, 23, v11
	s_delay_alu instid0(VALU_DEP_3) | instskip(NEXT) | instid1(VALU_DEP_2)
	v_cmp_eq_u64_e64 s1, 0, v[33:34]
	v_add3_u32 v9, v1, v13, v2
	s_delay_alu instid0(VALU_DEP_2) | instskip(NEXT) | instid1(VALU_DEP_1)
	s_and_b32 vcc_lo, s1, s0
	v_add_nc_u32_e32 v10, -1, v9
	v_subrev_co_ci_u32_e32 v6, vcc_lo, 0, v11, vcc_lo
	s_mov_b32 s0, exec_lo
	s_delay_alu instid0(VALU_DEP_1) | instskip(NEXT) | instid1(VALU_DEP_1)
	v_and_b32_e32 v1, 0xfffff, v6
                                        ; implicit-def: $vgpr6
	v_add_co_u32 v1, vcc_lo, v1, v11
	v_add_co_ci_u32_e32 v2, vcc_lo, 0, v12, vcc_lo
	v_cmpx_ne_u32_e32 0, v10
	s_xor_b32 s0, exec_lo, s0
; %bb.241:                              ;   in Loop: Header=BB0_29 Depth=1
	s_delay_alu instid0(VALU_DEP_3) | instskip(SKIP_1) | instid1(VALU_DEP_2)
	v_and_b32_e32 v33, 0x1000000, v1
	v_bfe_u32 v6, v1, 24, 1
	v_cmp_eq_u64_e32 vcc_lo, 0, v[33:34]
	s_delay_alu instid0(VALU_DEP_2)
	v_lshrrev_b64 v[1:2], v6, v[1:2]
	v_cndmask_b32_e32 v6, v9, v10, vcc_lo
; %bb.242:                              ;   in Loop: Header=BB0_29 Depth=1
	s_and_not1_saveexec_b32 s0, s0
; %bb.243:                              ;   in Loop: Header=BB0_29 Depth=1
	s_delay_alu instid0(VALU_DEP_2)
	v_bfe_u32 v6, v1, 23, 1
; %bb.244:                              ;   in Loop: Header=BB0_29 Depth=1
	s_or_b32 exec_lo, exec_lo, s0
	s_delay_alu instid0(VALU_DEP_3) | instskip(NEXT) | instid1(VALU_DEP_2)
	v_lshrrev_b64 v[1:2], 20, v[1:2]
	v_cmp_gt_i32_e32 vcc_lo, 16, v6
	v_cmp_ne_u32_e64 s0, 0, v6
	s_delay_alu instid0(VALU_DEP_3) | instskip(NEXT) | instid1(VALU_DEP_1)
	v_dual_cndmask_b32 v2, 0, v2 :: v_dual_cndmask_b32 v1, 7, v1
	v_cmp_ne_u64_e32 vcc_lo, 0, v[1:2]
                                        ; implicit-def: $vgpr2
	s_delay_alu instid0(VALU_DEP_3) | instskip(NEXT) | instid1(SALU_CYCLE_1)
	s_or_b32 s0, s0, vcc_lo
	s_and_saveexec_b32 s1, s0
	s_delay_alu instid0(SALU_CYCLE_1)
	s_xor_b32 s0, exec_lo, s1
; %bb.245:                              ;   in Loop: Header=BB0_29 Depth=1
	v_min_i32_e32 v2, 15, v6
	s_delay_alu instid0(VALU_DEP_1) | instskip(NEXT) | instid1(VALU_DEP_1)
	v_lshl_or_b32 v2, v2, 3, v5
                                        ; implicit-def: $vgpr5
	v_and_or_b32 v2, v1, 7, v2
; %bb.246:                              ;   in Loop: Header=BB0_29 Depth=1
	s_and_not1_saveexec_b32 s0, s0
; %bb.247:                              ;   in Loop: Header=BB0_29 Depth=1
	v_mov_b32_e32 v2, v5
; %bb.248:                              ;   in Loop: Header=BB0_29 Depth=1
	s_or_b32 exec_lo, exec_lo, s0
.LBB0_249:                              ;   in Loop: Header=BB0_29 Depth=1
	s_delay_alu instid0(SALU_CYCLE_1)
	s_or_b32 exec_lo, exec_lo, s16
.LBB0_250:                              ;   in Loop: Header=BB0_29 Depth=1
	s_and_not1_saveexec_b32 s0, s15
	s_delay_alu instid0(SALU_CYCLE_1)
	s_or_b32 exec_lo, exec_lo, s0
                                        ; implicit-def: $vgpr6
.LBB0_251:                              ;   in Loop: Header=BB0_29 Depth=1
	s_and_not1_saveexec_b32 s0, s14
; %bb.252:                              ;   in Loop: Header=BB0_29 Depth=1
	v_cmp_eq_u64_e32 vcc_lo, 0, v[33:34]
	v_or_b32_e32 v1, 0x7f, v6
	s_delay_alu instid0(VALU_DEP_1)
	v_cndmask_b32_e32 v2, v1, v2, vcc_lo
; %bb.253:                              ;   in Loop: Header=BB0_29 Depth=1
	s_or_b32 exec_lo, exec_lo, s0
	v_dual_mul_f32 v1, v3, v37 :: v_dual_mov_b32 v10, v34
	s_mov_b32 s0, exec_lo
	s_delay_alu instid0(VALU_DEP_1) | instskip(SKIP_1) | instid1(VALU_DEP_2)
	v_mul_f32_e32 v1, v1, v7
	v_add_nc_u32_e32 v7, 13, v38
	v_mul_f32_e32 v1, v39, v1
	global_store_b8 v7, v2, s[2:3]
	v_minmax_f32 v1, v1, s13, 0xc3e00000
	s_delay_alu instid0(VALU_DEP_1) | instskip(SKIP_2) | instid1(VALU_DEP_3)
	v_lshrrev_b32_e32 v6, 24, v1
	v_and_b32_e32 v9, 0x7f800000, v1
	v_and_b32_e32 v33, 0x7fffff, v1
	;; [unrolled: 1-line block ×3, first 2 shown]
	s_delay_alu instid0(VALU_DEP_1) | instskip(NEXT) | instid1(VALU_DEP_4)
	v_or_b32_e32 v5, 0x7e, v3
	v_cmpx_ne_u64_e32 0x7f800000, v[9:10]
	s_xor_b32 s14, exec_lo, s0
	s_cbranch_execz .LBB0_267
; %bb.254:                              ;   in Loop: Header=BB0_29 Depth=1
	v_dual_mov_b32 v7, v34 :: v_dual_and_b32 v6, 0x7fffffff, v1
	s_mov_b32 s0, exec_lo
	s_delay_alu instid0(VALU_DEP_1)
	v_cmpx_gt_u64_e32 0x43e00001, v[6:7]
	s_xor_b32 s15, exec_lo, s0
	s_cbranch_execz .LBB0_266
; %bb.255:                              ;   in Loop: Header=BB0_29 Depth=1
	v_mov_b32_e32 v5, 0
	s_mov_b32 s16, exec_lo
	v_cmpx_ne_u32_e32 0, v1
	s_cbranch_execz .LBB0_265
; %bb.256:                              ;   in Loop: Header=BB0_29 Depth=1
	v_bfe_u32 v7, v1, 23, 8
	s_delay_alu instid0(VALU_DEP_1) | instskip(SKIP_2) | instid1(VALU_DEP_3)
	v_sub_nc_u32_e64 v1, 0x79, v7 clamp
	v_cmp_eq_u32_e32 vcc_lo, 0, v7
	v_add_nc_u32_e32 v7, 0xffffff88, v7
	v_cndmask_b32_e64 v11, v1, 0x78, vcc_lo
	v_or_b32_e32 v1, 0x800000, v33
	s_delay_alu instid0(VALU_DEP_1) | instskip(SKIP_1) | instid1(VALU_DEP_2)
	v_dual_cndmask_b32 v33, v1, v33 :: v_dual_add_nc_u32 v2, 20, v11
	v_add_nc_u32_e32 v5, 19, v11
	v_lshlrev_b64 v[1:2], v2, -1
	s_delay_alu instid0(VALU_DEP_3) | instskip(NEXT) | instid1(VALU_DEP_2)
	v_lshrrev_b64 v[9:10], v11, v[33:34]
	v_not_b32_e32 v6, v2
	s_delay_alu instid0(VALU_DEP_3) | instskip(SKIP_1) | instid1(VALU_DEP_3)
	v_not_b32_e32 v12, v1
	v_lshlrev_b64 v[1:2], v5, 1
	v_and_b32_e32 v6, 0, v6
	s_delay_alu instid0(VALU_DEP_3) | instskip(SKIP_1) | instid1(VALU_DEP_2)
	v_and_b32_e32 v5, v33, v12
	v_and_b32_e32 v33, 0x100000, v9
	v_cmp_eq_u64_e64 s0, v[5:6], v[1:2]
	s_delay_alu instid0(VALU_DEP_2) | instskip(SKIP_2) | instid1(VALU_DEP_3)
	v_cmp_eq_u64_e64 s1, 0, v[33:34]
	v_cndmask_b32_e64 v1, v7, 0xffffff89, vcc_lo
	v_lshrrev_b32_e32 v2, 23, v9
	s_and_b32 vcc_lo, s1, s0
	s_delay_alu instid0(VALU_DEP_1) | instskip(SKIP_2) | instid1(VALU_DEP_2)
	v_add3_u32 v5, v1, v11, v2
	v_subrev_co_ci_u32_e32 v6, vcc_lo, 0, v9, vcc_lo
	s_mov_b32 s0, exec_lo
	v_add_nc_u32_e32 v7, -1, v5
	s_delay_alu instid0(VALU_DEP_2) | instskip(NEXT) | instid1(VALU_DEP_1)
	v_and_b32_e32 v1, 0xfffff, v6
                                        ; implicit-def: $vgpr6
	v_add_co_u32 v1, vcc_lo, v1, v9
	v_add_co_ci_u32_e32 v2, vcc_lo, 0, v10, vcc_lo
	s_delay_alu instid0(VALU_DEP_4)
	v_cmpx_ne_u32_e32 0, v7
	s_xor_b32 s0, exec_lo, s0
; %bb.257:                              ;   in Loop: Header=BB0_29 Depth=1
	s_delay_alu instid0(VALU_DEP_3) | instskip(SKIP_1) | instid1(VALU_DEP_2)
	v_and_b32_e32 v33, 0x1000000, v1
	v_bfe_u32 v6, v1, 24, 1
	v_cmp_eq_u64_e32 vcc_lo, 0, v[33:34]
	s_delay_alu instid0(VALU_DEP_2)
	v_lshrrev_b64 v[1:2], v6, v[1:2]
	v_cndmask_b32_e32 v6, v5, v7, vcc_lo
; %bb.258:                              ;   in Loop: Header=BB0_29 Depth=1
	s_and_not1_saveexec_b32 s0, s0
; %bb.259:                              ;   in Loop: Header=BB0_29 Depth=1
	s_delay_alu instid0(VALU_DEP_2)
	v_bfe_u32 v6, v1, 23, 1
; %bb.260:                              ;   in Loop: Header=BB0_29 Depth=1
	s_or_b32 exec_lo, exec_lo, s0
	s_delay_alu instid0(VALU_DEP_3) | instskip(NEXT) | instid1(VALU_DEP_2)
	v_lshrrev_b64 v[1:2], 20, v[1:2]
	v_cmp_gt_i32_e32 vcc_lo, 16, v6
	v_cmp_ne_u32_e64 s0, 0, v6
                                        ; implicit-def: $vgpr5
	s_delay_alu instid0(VALU_DEP_3) | instskip(NEXT) | instid1(VALU_DEP_1)
	v_dual_cndmask_b32 v2, 0, v2 :: v_dual_cndmask_b32 v1, 7, v1
	v_cmp_ne_u64_e32 vcc_lo, 0, v[1:2]
	s_delay_alu instid0(VALU_DEP_3) | instskip(NEXT) | instid1(SALU_CYCLE_1)
	s_or_b32 s0, s0, vcc_lo
	s_and_saveexec_b32 s1, s0
	s_delay_alu instid0(SALU_CYCLE_1)
	s_xor_b32 s0, exec_lo, s1
; %bb.261:                              ;   in Loop: Header=BB0_29 Depth=1
	v_min_i32_e32 v2, 15, v6
	s_delay_alu instid0(VALU_DEP_1) | instskip(NEXT) | instid1(VALU_DEP_1)
	v_lshl_or_b32 v2, v2, 3, v3
                                        ; implicit-def: $vgpr3
	v_and_or_b32 v5, v1, 7, v2
; %bb.262:                              ;   in Loop: Header=BB0_29 Depth=1
	s_and_not1_saveexec_b32 s0, s0
; %bb.263:                              ;   in Loop: Header=BB0_29 Depth=1
	v_mov_b32_e32 v5, v3
; %bb.264:                              ;   in Loop: Header=BB0_29 Depth=1
	s_or_b32 exec_lo, exec_lo, s0
.LBB0_265:                              ;   in Loop: Header=BB0_29 Depth=1
	s_delay_alu instid0(SALU_CYCLE_1)
	s_or_b32 exec_lo, exec_lo, s16
.LBB0_266:                              ;   in Loop: Header=BB0_29 Depth=1
	s_and_not1_saveexec_b32 s0, s15
	s_delay_alu instid0(SALU_CYCLE_1)
	s_or_b32 exec_lo, exec_lo, s0
                                        ; implicit-def: $vgpr6
.LBB0_267:                              ;   in Loop: Header=BB0_29 Depth=1
	s_and_not1_saveexec_b32 s0, s14
; %bb.268:                              ;   in Loop: Header=BB0_29 Depth=1
	v_cmp_eq_u64_e32 vcc_lo, 0, v[33:34]
	v_or_b32_e32 v1, 0x7f, v6
	s_delay_alu instid0(VALU_DEP_1)
	v_cndmask_b32_e32 v5, v1, v5, vcc_lo
; %bb.269:                              ;   in Loop: Header=BB0_29 Depth=1
	s_or_b32 exec_lo, exec_lo, s0
	v_mul_f32_e32 v1, v4, v37
	s_mov_b32 s0, exec_lo
	v_mov_b32_e32 v7, v34
	s_delay_alu instid0(VALU_DEP_2) | instskip(NEXT) | instid1(VALU_DEP_1)
	v_dual_mul_f32 v1, v1, v8 :: v_dual_add_nc_u32 v8, 14, v38
	v_mul_f32_e32 v1, v39, v1
	global_store_b8 v8, v5, s[2:3]
	v_minmax_f32 v1, v1, s13, 0xc3e00000
	s_delay_alu instid0(VALU_DEP_1) | instskip(SKIP_2) | instid1(VALU_DEP_3)
	v_lshrrev_b32_e32 v4, 24, v1
	v_and_b32_e32 v6, 0x7f800000, v1
	v_and_b32_e32 v33, 0x7fffff, v1
	;; [unrolled: 1-line block ×3, first 2 shown]
	s_delay_alu instid0(VALU_DEP_1) | instskip(NEXT) | instid1(VALU_DEP_4)
	v_or_b32_e32 v2, 0x7e, v3
	v_cmpx_ne_u64_e32 0x7f800000, v[6:7]
	s_xor_b32 s14, exec_lo, s0
	s_cbranch_execz .LBB0_283
; %bb.270:                              ;   in Loop: Header=BB0_29 Depth=1
	v_dual_mov_b32 v5, v34 :: v_dual_and_b32 v4, 0x7fffffff, v1
	s_mov_b32 s0, exec_lo
	s_delay_alu instid0(VALU_DEP_1)
	v_cmpx_gt_u64_e32 0x43e00001, v[4:5]
	s_xor_b32 s15, exec_lo, s0
	s_cbranch_execz .LBB0_282
; %bb.271:                              ;   in Loop: Header=BB0_29 Depth=1
	v_mov_b32_e32 v2, 0
	s_mov_b32 s16, exec_lo
	v_cmpx_ne_u32_e32 0, v1
	s_cbranch_execz .LBB0_281
; %bb.272:                              ;   in Loop: Header=BB0_29 Depth=1
	v_bfe_u32 v6, v1, 23, 8
	s_delay_alu instid0(VALU_DEP_1) | instskip(SKIP_2) | instid1(VALU_DEP_3)
	v_sub_nc_u32_e64 v1, 0x79, v6 clamp
	v_cmp_eq_u32_e32 vcc_lo, 0, v6
	v_add_nc_u32_e32 v6, 0xffffff88, v6
	v_cndmask_b32_e64 v9, v1, 0x78, vcc_lo
	v_or_b32_e32 v1, 0x800000, v33
	s_delay_alu instid0(VALU_DEP_2) | instskip(NEXT) | instid1(VALU_DEP_2)
	v_add_nc_u32_e32 v2, 20, v9
	v_cndmask_b32_e32 v33, v1, v33, vcc_lo
	v_add_nc_u32_e32 v4, 19, v9
	s_delay_alu instid0(VALU_DEP_3) | instskip(NEXT) | instid1(VALU_DEP_3)
	v_lshlrev_b64 v[1:2], v2, -1
	v_lshrrev_b64 v[7:8], v9, v[33:34]
	s_delay_alu instid0(VALU_DEP_2) | instskip(NEXT) | instid1(VALU_DEP_3)
	v_not_b32_e32 v5, v2
	v_not_b32_e32 v10, v1
	v_lshlrev_b64 v[1:2], v4, 1
	s_delay_alu instid0(VALU_DEP_3) | instskip(NEXT) | instid1(VALU_DEP_3)
	v_and_b32_e32 v5, 0, v5
	v_and_b32_e32 v4, v33, v10
	;; [unrolled: 1-line block ×3, first 2 shown]
	s_delay_alu instid0(VALU_DEP_2) | instskip(NEXT) | instid1(VALU_DEP_2)
	v_cmp_eq_u64_e64 s0, v[4:5], v[1:2]
	v_cmp_eq_u64_e64 s1, 0, v[33:34]
	v_cndmask_b32_e64 v1, v6, 0xffffff89, vcc_lo
	v_lshrrev_b32_e32 v2, 23, v7
	s_delay_alu instid0(VALU_DEP_3) | instskip(NEXT) | instid1(VALU_DEP_1)
	s_and_b32 vcc_lo, s1, s0
	v_add3_u32 v5, v1, v9, v2
	v_subrev_co_ci_u32_e32 v4, vcc_lo, 0, v7, vcc_lo
	s_mov_b32 s0, exec_lo
	s_delay_alu instid0(VALU_DEP_2) | instskip(NEXT) | instid1(VALU_DEP_2)
	v_add_nc_u32_e32 v6, -1, v5
	v_and_b32_e32 v1, 0xfffff, v4
                                        ; implicit-def: $vgpr4
	s_delay_alu instid0(VALU_DEP_1) | instskip(SKIP_1) | instid1(VALU_DEP_4)
	v_add_co_u32 v1, vcc_lo, v1, v7
	v_add_co_ci_u32_e32 v2, vcc_lo, 0, v8, vcc_lo
	v_cmpx_ne_u32_e32 0, v6
	s_xor_b32 s0, exec_lo, s0
; %bb.273:                              ;   in Loop: Header=BB0_29 Depth=1
	s_delay_alu instid0(VALU_DEP_3) | instskip(SKIP_1) | instid1(VALU_DEP_2)
	v_and_b32_e32 v33, 0x1000000, v1
	v_bfe_u32 v4, v1, 24, 1
	v_cmp_eq_u64_e32 vcc_lo, 0, v[33:34]
	s_delay_alu instid0(VALU_DEP_2)
	v_lshrrev_b64 v[1:2], v4, v[1:2]
	v_cndmask_b32_e32 v4, v5, v6, vcc_lo
; %bb.274:                              ;   in Loop: Header=BB0_29 Depth=1
	s_and_not1_saveexec_b32 s0, s0
; %bb.275:                              ;   in Loop: Header=BB0_29 Depth=1
	s_delay_alu instid0(VALU_DEP_2)
	v_bfe_u32 v4, v1, 23, 1
; %bb.276:                              ;   in Loop: Header=BB0_29 Depth=1
	s_or_b32 exec_lo, exec_lo, s0
	s_delay_alu instid0(VALU_DEP_3) | instskip(NEXT) | instid1(VALU_DEP_2)
	v_lshrrev_b64 v[1:2], 20, v[1:2]
	v_cmp_gt_i32_e32 vcc_lo, 16, v4
	v_cmp_ne_u32_e64 s0, 0, v4
	s_delay_alu instid0(VALU_DEP_3) | instskip(NEXT) | instid1(VALU_DEP_1)
	v_dual_cndmask_b32 v2, 0, v2 :: v_dual_cndmask_b32 v1, 7, v1
	v_cmp_ne_u64_e32 vcc_lo, 0, v[1:2]
                                        ; implicit-def: $vgpr2
	s_delay_alu instid0(VALU_DEP_3) | instskip(NEXT) | instid1(SALU_CYCLE_1)
	s_or_b32 s0, s0, vcc_lo
	s_and_saveexec_b32 s1, s0
	s_delay_alu instid0(SALU_CYCLE_1)
	s_xor_b32 s0, exec_lo, s1
; %bb.277:                              ;   in Loop: Header=BB0_29 Depth=1
	v_min_i32_e32 v2, 15, v4
	s_delay_alu instid0(VALU_DEP_1) | instskip(NEXT) | instid1(VALU_DEP_1)
	v_lshl_or_b32 v2, v2, 3, v3
                                        ; implicit-def: $vgpr3
	v_and_or_b32 v2, v1, 7, v2
; %bb.278:                              ;   in Loop: Header=BB0_29 Depth=1
	s_and_not1_saveexec_b32 s0, s0
; %bb.279:                              ;   in Loop: Header=BB0_29 Depth=1
	v_mov_b32_e32 v2, v3
; %bb.280:                              ;   in Loop: Header=BB0_29 Depth=1
	s_or_b32 exec_lo, exec_lo, s0
.LBB0_281:                              ;   in Loop: Header=BB0_29 Depth=1
	s_delay_alu instid0(SALU_CYCLE_1)
	s_or_b32 exec_lo, exec_lo, s16
.LBB0_282:                              ;   in Loop: Header=BB0_29 Depth=1
	s_and_not1_saveexec_b32 s0, s15
	s_delay_alu instid0(SALU_CYCLE_1)
	s_or_b32 exec_lo, exec_lo, s0
                                        ; implicit-def: $vgpr4
.LBB0_283:                              ;   in Loop: Header=BB0_29 Depth=1
	s_and_not1_saveexec_b32 s0, s14
	s_cbranch_execz .LBB0_28
; %bb.284:                              ;   in Loop: Header=BB0_29 Depth=1
	v_cmp_eq_u64_e32 vcc_lo, 0, v[33:34]
	v_or_b32_e32 v1, 0x7f, v4
	s_delay_alu instid0(VALU_DEP_1)
	v_cndmask_b32_e32 v2, v1, v2, vcc_lo
	s_branch .LBB0_28
.LBB0_285:
	s_nop 0
	s_sendmsg sendmsg(MSG_DEALLOC_VGPRS)
	s_endpgm
	.section	.rodata,"a",@progbits
	.p2align	6, 0x0
	.amdhsa_kernel _ZN4vllm32rms_norm_static_fp8_quant_kernelIfN3c1013Float8_e4m3fnELi16EEEvPT0_PKT_iS7_PKffii
		.amdhsa_group_segment_fixed_size 132
		.amdhsa_private_segment_fixed_size 0
		.amdhsa_kernarg_size 312
		.amdhsa_user_sgpr_count 15
		.amdhsa_user_sgpr_dispatch_ptr 0
		.amdhsa_user_sgpr_queue_ptr 0
		.amdhsa_user_sgpr_kernarg_segment_ptr 1
		.amdhsa_user_sgpr_dispatch_id 0
		.amdhsa_user_sgpr_private_segment_size 0
		.amdhsa_wavefront_size32 1
		.amdhsa_uses_dynamic_stack 0
		.amdhsa_enable_private_segment 0
		.amdhsa_system_sgpr_workgroup_id_x 1
		.amdhsa_system_sgpr_workgroup_id_y 0
		.amdhsa_system_sgpr_workgroup_id_z 0
		.amdhsa_system_sgpr_workgroup_info 0
		.amdhsa_system_vgpr_workitem_id 0
		.amdhsa_next_free_vgpr 47
		.amdhsa_next_free_sgpr 20
		.amdhsa_reserve_vcc 1
		.amdhsa_float_round_mode_32 0
		.amdhsa_float_round_mode_16_64 0
		.amdhsa_float_denorm_mode_32 3
		.amdhsa_float_denorm_mode_16_64 3
		.amdhsa_dx10_clamp 1
		.amdhsa_ieee_mode 1
		.amdhsa_fp16_overflow 0
		.amdhsa_workgroup_processor_mode 1
		.amdhsa_memory_ordered 1
		.amdhsa_forward_progress 0
		.amdhsa_shared_vgpr_count 0
		.amdhsa_exception_fp_ieee_invalid_op 0
		.amdhsa_exception_fp_denorm_src 0
		.amdhsa_exception_fp_ieee_div_zero 0
		.amdhsa_exception_fp_ieee_overflow 0
		.amdhsa_exception_fp_ieee_underflow 0
		.amdhsa_exception_fp_ieee_inexact 0
		.amdhsa_exception_int_div_zero 0
	.end_amdhsa_kernel
	.section	.text._ZN4vllm32rms_norm_static_fp8_quant_kernelIfN3c1013Float8_e4m3fnELi16EEEvPT0_PKT_iS7_PKffii,"axG",@progbits,_ZN4vllm32rms_norm_static_fp8_quant_kernelIfN3c1013Float8_e4m3fnELi16EEEvPT0_PKT_iS7_PKffii,comdat
.Lfunc_end0:
	.size	_ZN4vllm32rms_norm_static_fp8_quant_kernelIfN3c1013Float8_e4m3fnELi16EEEvPT0_PKT_iS7_PKffii, .Lfunc_end0-_ZN4vllm32rms_norm_static_fp8_quant_kernelIfN3c1013Float8_e4m3fnELi16EEEvPT0_PKT_iS7_PKffii
                                        ; -- End function
	.section	.AMDGPU.csdata,"",@progbits
; Kernel info:
; codeLenInByte = 11736
; NumSgprs: 22
; NumVgprs: 47
; ScratchSize: 0
; MemoryBound: 1
; FloatMode: 240
; IeeeMode: 1
; LDSByteSize: 132 bytes/workgroup (compile time only)
; SGPRBlocks: 2
; VGPRBlocks: 5
; NumSGPRsForWavesPerEU: 22
; NumVGPRsForWavesPerEU: 47
; Occupancy: 16
; WaveLimiterHint : 0
; COMPUTE_PGM_RSRC2:SCRATCH_EN: 0
; COMPUTE_PGM_RSRC2:USER_SGPR: 15
; COMPUTE_PGM_RSRC2:TRAP_HANDLER: 0
; COMPUTE_PGM_RSRC2:TGID_X_EN: 1
; COMPUTE_PGM_RSRC2:TGID_Y_EN: 0
; COMPUTE_PGM_RSRC2:TGID_Z_EN: 0
; COMPUTE_PGM_RSRC2:TIDIG_COMP_CNT: 0
	.section	.text._ZN4vllm32rms_norm_static_fp8_quant_kernelIfN3c1013Float8_e4m3fnELi8EEEvPT0_PKT_iS7_PKffii,"axG",@progbits,_ZN4vllm32rms_norm_static_fp8_quant_kernelIfN3c1013Float8_e4m3fnELi8EEEvPT0_PKT_iS7_PKffii,comdat
	.protected	_ZN4vllm32rms_norm_static_fp8_quant_kernelIfN3c1013Float8_e4m3fnELi8EEEvPT0_PKT_iS7_PKffii ; -- Begin function _ZN4vllm32rms_norm_static_fp8_quant_kernelIfN3c1013Float8_e4m3fnELi8EEEvPT0_PKT_iS7_PKffii
	.globl	_ZN4vllm32rms_norm_static_fp8_quant_kernelIfN3c1013Float8_e4m3fnELi8EEEvPT0_PKT_iS7_PKffii
	.p2align	8
	.type	_ZN4vllm32rms_norm_static_fp8_quant_kernelIfN3c1013Float8_e4m3fnELi8EEEvPT0_PKT_iS7_PKffii,@function
_ZN4vllm32rms_norm_static_fp8_quant_kernelIfN3c1013Float8_e4m3fnELi8EEEvPT0_PKT_iS7_PKffii: ; @_ZN4vllm32rms_norm_static_fp8_quant_kernelIfN3c1013Float8_e4m3fnELi8EEEvPT0_PKT_iS7_PKffii
; %bb.0:
	s_clause 0x3
	s_load_b32 s2, s[0:1], 0x10
	s_load_b64 s[4:5], s[0:1], 0x8
	s_load_b32 s8, s[0:1], 0x44
	s_load_b32 s13, s[0:1], 0x30
	s_mov_b32 s3, 0
	s_waitcnt lgkmcnt(0)
	s_mul_i32 s2, s15, s2
	s_delay_alu instid0(SALU_CYCLE_1) | instskip(NEXT) | instid1(SALU_CYCLE_1)
	s_lshl_b64 s[6:7], s[2:3], 2
	s_add_u32 s10, s4, s6
	s_addc_u32 s11, s5, s7
	s_and_b32 s2, s10, 31
	s_and_b32 s12, s8, 0xffff
	s_cmp_lg_u64 s[2:3], 0
	s_cselect_b32 s2, -1, 0
	s_and_b32 s3, s13, 7
	s_delay_alu instid0(SALU_CYCLE_1) | instskip(SKIP_1) | instid1(SALU_CYCLE_1)
	s_cmp_lg_u32 s3, 0
	s_cselect_b32 s3, -1, 0
	s_or_b32 s2, s2, s3
	s_delay_alu instid0(SALU_CYCLE_1)
	s_and_b32 vcc_lo, exec_lo, s2
	s_cbranch_vccz .LBB1_14
; %bb.1:
	s_sub_i32 s2, 0, s10
	v_mov_b32_e32 v4, 0
	s_bfe_u32 s2, s2, 0x30002
	s_mov_b32 s3, exec_lo
	s_min_i32 s8, s2, s13
	s_delay_alu instid0(SALU_CYCLE_1)
	v_cmpx_gt_i32_e64 s8, v0
	s_cbranch_execz .LBB1_5
; %bb.2:
	v_dual_mov_b32 v4, 0 :: v_dual_lshlrev_b32 v1, 2, v0
	s_add_u32 s2, s4, s6
	s_addc_u32 s9, s5, s7
	v_mov_b32_e32 v3, v0
	s_delay_alu instid0(VALU_DEP_2) | instskip(NEXT) | instid1(VALU_DEP_1)
	v_add_co_u32 v1, s2, s2, v1
	v_add_co_ci_u32_e64 v2, null, s9, 0, s2
	s_mov_b32 s9, 0
	s_lshl_b32 s14, s12, 2
.LBB1_3:                                ; =>This Inner Loop Header: Depth=1
	global_load_b32 v5, v[1:2], off
	v_add_nc_u32_e32 v3, s12, v3
	v_add_co_u32 v1, vcc_lo, v1, s14
	v_add_co_ci_u32_e32 v2, vcc_lo, 0, v2, vcc_lo
	s_waitcnt vmcnt(0)
	v_fmac_f32_e32 v4, v5, v5
	v_cmp_le_i32_e64 s2, s8, v3
	s_delay_alu instid0(VALU_DEP_1) | instskip(NEXT) | instid1(SALU_CYCLE_1)
	s_or_b32 s9, s2, s9
	s_and_not1_b32 exec_lo, exec_lo, s9
	s_cbranch_execnz .LBB1_3
; %bb.4:
	s_or_b32 exec_lo, exec_lo, s9
.LBB1_5:
	s_delay_alu instid0(SALU_CYCLE_1)
	s_or_b32 exec_lo, exec_lo, s3
	s_sub_i32 s3, s13, s8
	s_ashr_i32 s9, s8, 31
	s_ashr_i32 s2, s3, 31
	s_mov_b32 s16, exec_lo
	s_lshr_b32 s2, s2, 29
	s_delay_alu instid0(SALU_CYCLE_1) | instskip(NEXT) | instid1(SALU_CYCLE_1)
	s_add_i32 s2, s3, s2
	s_ashr_i32 s14, s2, 3
	s_delay_alu instid0(SALU_CYCLE_1)
	v_cmpx_gt_i32_e64 s14, v0
	s_cbranch_execz .LBB1_9
; %bb.6:
	v_lshlrev_b32_e32 v1, 5, v0
	s_lshl_b64 s[18:19], s[8:9], 2
	s_add_u32 s2, s4, s6
	s_addc_u32 s17, s5, s7
	s_add_u32 s2, s2, s18
	s_addc_u32 s17, s17, s19
	v_add_co_u32 v1, s2, s2, v1
	s_delay_alu instid0(VALU_DEP_1)
	v_add_co_ci_u32_e64 v2, null, s17, 0, s2
	v_mov_b32_e32 v3, v0
	s_mov_b32 s17, 0
	s_lshl_b32 s18, s12, 5
	.p2align	6
.LBB1_7:                                ; =>This Inner Loop Header: Depth=1
	s_clause 0x1
	global_load_b128 v[5:8], v[1:2], off
	global_load_b128 v[9:12], v[1:2], off offset:16
	v_add_co_u32 v1, vcc_lo, v1, s18
	v_add_co_ci_u32_e32 v2, vcc_lo, 0, v2, vcc_lo
	v_add_nc_u32_e32 v3, s12, v3
	s_delay_alu instid0(VALU_DEP_1) | instskip(NEXT) | instid1(VALU_DEP_1)
	v_cmp_le_i32_e64 s2, s14, v3
	s_or_b32 s17, s2, s17
	s_waitcnt vmcnt(1)
	v_fmac_f32_e32 v4, v5, v5
	s_delay_alu instid0(VALU_DEP_1) | instskip(NEXT) | instid1(VALU_DEP_1)
	v_fmac_f32_e32 v4, v6, v6
	v_fmac_f32_e32 v4, v7, v7
	s_delay_alu instid0(VALU_DEP_1) | instskip(SKIP_1) | instid1(VALU_DEP_1)
	v_fmac_f32_e32 v4, v8, v8
	s_waitcnt vmcnt(0)
	v_fmac_f32_e32 v4, v9, v9
	s_delay_alu instid0(VALU_DEP_1) | instskip(NEXT) | instid1(VALU_DEP_1)
	v_fmac_f32_e32 v4, v10, v10
	v_fmac_f32_e32 v4, v11, v11
	s_delay_alu instid0(VALU_DEP_1)
	v_fmac_f32_e32 v4, v12, v12
	s_and_not1_b32 exec_lo, exec_lo, s17
	s_cbranch_execnz .LBB1_7
; %bb.8:
	s_or_b32 exec_lo, exec_lo, s17
.LBB1_9:
	s_delay_alu instid0(SALU_CYCLE_1) | instskip(SKIP_2) | instid1(VALU_DEP_1)
	s_or_b32 exec_lo, exec_lo, s16
	v_lshl_add_u32 v1, s14, 3, v0
	s_mov_b32 s14, exec_lo
	v_cmpx_gt_i32_e64 s3, v1
	s_cbranch_execz .LBB1_13
; %bb.10:
	v_ashrrev_i32_e32 v2, 31, v1
	s_lshl_b64 s[8:9], s[8:9], 2
	s_add_u32 s2, s4, s6
	s_addc_u32 s16, s5, s7
	s_add_u32 s2, s2, s8
	v_lshlrev_b64 v[2:3], 2, v[1:2]
	s_addc_u32 s8, s16, s9
	s_lshl_b32 s9, s12, 2
	s_delay_alu instid0(VALU_DEP_1) | instskip(NEXT) | instid1(VALU_DEP_2)
	v_add_co_u32 v2, vcc_lo, s2, v2
	v_add_co_ci_u32_e32 v3, vcc_lo, s8, v3, vcc_lo
	s_mov_b32 s8, 0
.LBB1_11:                               ; =>This Inner Loop Header: Depth=1
	global_load_b32 v5, v[2:3], off
	v_add_nc_u32_e32 v1, s12, v1
	v_add_co_u32 v2, vcc_lo, v2, s9
	v_add_co_ci_u32_e32 v3, vcc_lo, 0, v3, vcc_lo
	s_delay_alu instid0(VALU_DEP_3) | instskip(NEXT) | instid1(VALU_DEP_1)
	v_cmp_le_i32_e64 s2, s3, v1
	s_or_b32 s8, s2, s8
	s_waitcnt vmcnt(0)
	v_fmac_f32_e32 v4, v5, v5
	s_and_not1_b32 exec_lo, exec_lo, s8
	s_cbranch_execnz .LBB1_11
; %bb.12:
	s_or_b32 exec_lo, exec_lo, s8
.LBB1_13:
	s_delay_alu instid0(SALU_CYCLE_1)
	s_or_b32 exec_lo, exec_lo, s14
	s_branch .LBB1_20
.LBB1_14:
                                        ; implicit-def: $vgpr4
	s_cbranch_execz .LBB1_20
; %bb.15:
	v_mov_b32_e32 v4, 0
	s_ashr_i32 s8, s13, 3
	s_mov_b32 s3, exec_lo
	v_cmpx_gt_i32_e64 s8, v0
	s_cbranch_execz .LBB1_19
; %bb.16:
	v_dual_mov_b32 v4, 0 :: v_dual_lshlrev_b32 v1, 5, v0
	s_add_u32 s2, s4, s6
	s_addc_u32 s4, s5, s7
	v_mov_b32_e32 v3, v0
	s_delay_alu instid0(VALU_DEP_2) | instskip(NEXT) | instid1(VALU_DEP_1)
	v_add_co_u32 v1, s2, s2, v1
	v_add_co_ci_u32_e64 v2, null, s4, 0, s2
	s_mov_b32 s4, 0
	s_lshl_b32 s5, s12, 5
	.p2align	6
.LBB1_17:                               ; =>This Inner Loop Header: Depth=1
	s_clause 0x1
	global_load_b128 v[5:8], v[1:2], off
	global_load_b128 v[9:12], v[1:2], off offset:16
	v_add_co_u32 v1, vcc_lo, v1, s5
	v_add_co_ci_u32_e32 v2, vcc_lo, 0, v2, vcc_lo
	v_add_nc_u32_e32 v3, s12, v3
	s_delay_alu instid0(VALU_DEP_1) | instskip(NEXT) | instid1(VALU_DEP_1)
	v_cmp_le_i32_e64 s2, s8, v3
	s_or_b32 s4, s2, s4
	s_waitcnt vmcnt(1)
	v_fmac_f32_e32 v4, v5, v5
	s_delay_alu instid0(VALU_DEP_1) | instskip(NEXT) | instid1(VALU_DEP_1)
	v_fmac_f32_e32 v4, v6, v6
	v_fmac_f32_e32 v4, v7, v7
	s_delay_alu instid0(VALU_DEP_1) | instskip(SKIP_1) | instid1(VALU_DEP_1)
	v_fmac_f32_e32 v4, v8, v8
	s_waitcnt vmcnt(0)
	v_fmac_f32_e32 v4, v9, v9
	s_delay_alu instid0(VALU_DEP_1) | instskip(NEXT) | instid1(VALU_DEP_1)
	v_fmac_f32_e32 v4, v10, v10
	v_fmac_f32_e32 v4, v11, v11
	s_delay_alu instid0(VALU_DEP_1)
	v_fmac_f32_e32 v4, v12, v12
	s_and_not1_b32 exec_lo, exec_lo, s4
	s_cbranch_execnz .LBB1_17
; %bb.18:
	s_or_b32 exec_lo, exec_lo, s4
.LBB1_19:
	s_delay_alu instid0(SALU_CYCLE_1)
	s_or_b32 exec_lo, exec_lo, s3
.LBB1_20:
	v_mbcnt_lo_u32_b32 v1, -1, 0
	v_and_b32_e32 v3, 0x3e0, v0
	s_mov_b32 s2, exec_lo
	s_delay_alu instid0(VALU_DEP_2) | instskip(NEXT) | instid1(VALU_DEP_2)
	v_cmp_ne_u32_e32 vcc_lo, 31, v1
	v_sub_nc_u32_e64 v12, s12, v3 clamp
	v_add_nc_u32_e32 v3, 1, v1
	v_add_co_ci_u32_e32 v2, vcc_lo, 0, v1, vcc_lo
	v_cmp_gt_u32_e32 vcc_lo, 30, v1
	s_delay_alu instid0(VALU_DEP_2)
	v_lshlrev_b32_e32 v2, 2, v2
	v_cndmask_b32_e64 v6, 0, 1, vcc_lo
	v_cmp_lt_u32_e32 vcc_lo, v3, v12
	ds_bpermute_b32 v5, v2, v4
	s_waitcnt lgkmcnt(0)
	v_dual_add_f32 v7, v4, v5 :: v_dual_lshlrev_b32 v6, 1, v6
	s_delay_alu instid0(VALU_DEP_1) | instskip(NEXT) | instid1(VALU_DEP_2)
	v_cndmask_b32_e32 v7, v4, v7, vcc_lo
	v_add_lshl_u32 v5, v6, v1, 2
	v_cmp_gt_u32_e32 vcc_lo, 28, v1
	ds_bpermute_b32 v6, v5, v7
	v_cndmask_b32_e64 v4, 0, 1, vcc_lo
	s_delay_alu instid0(VALU_DEP_1) | instskip(SKIP_1) | instid1(VALU_DEP_1)
	v_lshlrev_b32_e32 v8, 2, v4
	v_add_nc_u32_e32 v4, 2, v1
	v_cmp_lt_u32_e32 vcc_lo, v4, v12
	s_waitcnt lgkmcnt(0)
	v_add_f32_e32 v9, v7, v6
	v_add_lshl_u32 v6, v8, v1, 2
	s_delay_alu instid0(VALU_DEP_2) | instskip(SKIP_2) | instid1(VALU_DEP_1)
	v_cndmask_b32_e32 v9, v7, v9, vcc_lo
	v_cmp_gt_u32_e32 vcc_lo, 24, v1
	v_cndmask_b32_e64 v7, 0, 1, vcc_lo
	v_lshlrev_b32_e32 v10, 3, v7
	ds_bpermute_b32 v8, v6, v9
	v_add_nc_u32_e32 v7, 4, v1
	s_delay_alu instid0(VALU_DEP_1) | instskip(SKIP_3) | instid1(VALU_DEP_2)
	v_cmp_lt_u32_e32 vcc_lo, v7, v12
	s_waitcnt lgkmcnt(0)
	v_add_f32_e32 v11, v9, v8
	v_add_lshl_u32 v8, v10, v1, 2
	v_cndmask_b32_e32 v11, v9, v11, vcc_lo
	v_cmp_gt_u32_e32 vcc_lo, 16, v1
	ds_bpermute_b32 v10, v8, v11
	v_cndmask_b32_e64 v9, 0, 1, vcc_lo
	s_delay_alu instid0(VALU_DEP_1) | instskip(SKIP_1) | instid1(VALU_DEP_1)
	v_lshlrev_b32_e32 v13, 4, v9
	v_add_nc_u32_e32 v9, 8, v1
	v_cmp_lt_u32_e32 vcc_lo, v9, v12
	s_waitcnt lgkmcnt(0)
	v_add_f32_e32 v14, v11, v10
	v_add_lshl_u32 v10, v13, v1, 2
	s_delay_alu instid0(VALU_DEP_2)
	v_cndmask_b32_e32 v13, v11, v14, vcc_lo
	v_add_nc_u32_e32 v11, 16, v1
	ds_bpermute_b32 v14, v10, v13
	v_cmp_lt_u32_e32 vcc_lo, v11, v12
	s_waitcnt lgkmcnt(0)
	v_add_f32_e32 v14, v13, v14
	s_delay_alu instid0(VALU_DEP_1)
	v_cndmask_b32_e32 v12, v13, v14, vcc_lo
	v_cmpx_eq_u32_e32 0, v1
	s_cbranch_execz .LBB1_22
; %bb.21:
	v_lshrrev_b32_e32 v13, 3, v0
	s_delay_alu instid0(VALU_DEP_1)
	v_and_b32_e32 v13, 0x7c, v13
	ds_store_b32 v13, v12
.LBB1_22:
	s_or_b32 exec_lo, exec_lo, s2
	s_delay_alu instid0(SALU_CYCLE_1)
	s_mov_b32 s2, exec_lo
	s_waitcnt lgkmcnt(0)
	s_barrier
	buffer_gl0_inv
	v_cmpx_gt_u32_e32 32, v0
	s_cbranch_execz .LBB1_24
; %bb.23:
	v_lshlrev_b32_e32 v1, 2, v1
	s_add_i32 s3, s12, 31
	s_delay_alu instid0(SALU_CYCLE_1) | instskip(NEXT) | instid1(SALU_CYCLE_1)
	s_lshr_b32 s3, s3, 5
	v_cmp_gt_u32_e32 vcc_lo, s3, v3
	ds_load_b32 v1, v1
	s_waitcnt lgkmcnt(0)
	ds_bpermute_b32 v2, v2, v1
	s_waitcnt lgkmcnt(0)
	v_add_f32_e32 v2, v1, v2
	s_delay_alu instid0(VALU_DEP_1) | instskip(SKIP_4) | instid1(VALU_DEP_1)
	v_cndmask_b32_e32 v1, v1, v2, vcc_lo
	v_cmp_gt_u32_e32 vcc_lo, s3, v4
	ds_bpermute_b32 v2, v5, v1
	s_waitcnt lgkmcnt(0)
	v_add_f32_e32 v2, v1, v2
	v_cndmask_b32_e32 v1, v1, v2, vcc_lo
	v_cmp_gt_u32_e32 vcc_lo, s3, v7
	ds_bpermute_b32 v2, v6, v1
	s_waitcnt lgkmcnt(0)
	v_add_f32_e32 v2, v1, v2
	s_delay_alu instid0(VALU_DEP_1) | instskip(SKIP_4) | instid1(VALU_DEP_1)
	v_cndmask_b32_e32 v1, v1, v2, vcc_lo
	v_cmp_gt_u32_e32 vcc_lo, s3, v9
	ds_bpermute_b32 v2, v8, v1
	s_waitcnt lgkmcnt(0)
	v_add_f32_e32 v2, v1, v2
	v_cndmask_b32_e32 v1, v1, v2, vcc_lo
	v_cmp_gt_u32_e32 vcc_lo, s3, v11
	ds_bpermute_b32 v2, v10, v1
	s_waitcnt lgkmcnt(0)
	v_add_f32_e32 v2, v1, v2
	s_delay_alu instid0(VALU_DEP_1)
	v_cndmask_b32_e32 v12, v1, v2, vcc_lo
.LBB1_24:
	s_or_b32 exec_lo, exec_lo, s2
	s_delay_alu instid0(SALU_CYCLE_1)
	s_mov_b32 s2, exec_lo
	v_cmpx_eq_u32_e32 0, v0
	s_cbranch_execz .LBB1_26
; %bb.25:
	v_cvt_f32_i32_e32 v1, s13
	s_load_b32 s3, s[0:1], 0x28
	s_delay_alu instid0(VALU_DEP_1) | instskip(SKIP_1) | instid1(VALU_DEP_2)
	v_div_scale_f32 v2, null, v1, v1, v12
	v_div_scale_f32 v5, vcc_lo, v12, v1, v12
	v_rcp_f32_e32 v3, v2
	s_waitcnt_depctr 0xfff
	v_fma_f32 v4, -v2, v3, 1.0
	s_delay_alu instid0(VALU_DEP_1) | instskip(NEXT) | instid1(VALU_DEP_1)
	v_fmac_f32_e32 v3, v4, v3
	v_mul_f32_e32 v4, v5, v3
	s_delay_alu instid0(VALU_DEP_1) | instskip(NEXT) | instid1(VALU_DEP_1)
	v_fma_f32 v6, -v2, v4, v5
	v_fmac_f32_e32 v4, v6, v3
	s_delay_alu instid0(VALU_DEP_1) | instskip(NEXT) | instid1(VALU_DEP_1)
	v_fma_f32 v2, -v2, v4, v5
	v_div_fmas_f32 v2, v2, v3, v4
	s_delay_alu instid0(VALU_DEP_1) | instskip(SKIP_1) | instid1(VALU_DEP_1)
	v_div_fixup_f32 v1, v2, v1, v12
	s_waitcnt lgkmcnt(0)
	v_add_f32_e32 v1, s3, v1
	s_delay_alu instid0(VALU_DEP_1) | instskip(SKIP_1) | instid1(VALU_DEP_2)
	v_mul_f32_e32 v2, 0x4b800000, v1
	v_cmp_gt_f32_e32 vcc_lo, 0x800000, v1
	v_cndmask_b32_e32 v1, v1, v2, vcc_lo
	s_delay_alu instid0(VALU_DEP_1) | instskip(SKIP_2) | instid1(VALU_DEP_1)
	v_rsq_f32_e32 v1, v1
	s_waitcnt_depctr 0xfff
	v_mul_f32_e32 v2, 0x45800000, v1
	v_dual_cndmask_b32 v1, v1, v2 :: v_dual_mov_b32 v2, 0
	ds_store_b32 v2, v1 offset:128
.LBB1_26:
	s_or_b32 exec_lo, exec_lo, s2
	s_ashr_i32 s2, s13, 31
	s_waitcnt lgkmcnt(0)
	s_lshr_b32 s2, s2, 29
	s_barrier
	s_add_i32 s2, s13, s2
	buffer_gl0_inv
	s_ashr_i32 s8, s2, 3
	s_mov_b32 s2, exec_lo
	v_cmpx_gt_i32_e64 s8, v0
	s_cbranch_execz .LBB1_157
; %bb.27:
	s_clause 0x1
	s_load_b128 s[4:7], s[0:1], 0x18
	s_load_b64 s[2:3], s[0:1], 0x0
	s_mul_i32 s15, s15, s13
	s_lshl_b32 s9, s12, 5
	v_lshl_add_u32 v22, v0, 3, s15
	s_mov_b32 s13, 0x43e00000
	v_mov_b32_e32 v18, 0
	v_lshlrev_b32_e32 v24, 5, v0
	ds_load_b32 v21, v18 offset:128
	s_waitcnt lgkmcnt(0)
	s_load_b32 s7, s[6:7], 0x0
	s_lshl_b32 s6, s12, 3
	s_waitcnt lgkmcnt(0)
	v_div_scale_f32 v1, null, s7, s7, 1.0
	v_div_scale_f32 v4, vcc_lo, 1.0, s7, 1.0
	s_delay_alu instid0(VALU_DEP_2) | instskip(SKIP_2) | instid1(VALU_DEP_1)
	v_rcp_f32_e32 v2, v1
	s_waitcnt_depctr 0xfff
	v_fma_f32 v3, -v1, v2, 1.0
	v_fmac_f32_e32 v2, v3, v2
	s_delay_alu instid0(VALU_DEP_1) | instskip(NEXT) | instid1(VALU_DEP_1)
	v_mul_f32_e32 v3, v4, v2
	v_fma_f32 v5, -v1, v3, v4
	s_delay_alu instid0(VALU_DEP_1) | instskip(NEXT) | instid1(VALU_DEP_1)
	v_fmac_f32_e32 v3, v5, v2
	v_fma_f32 v1, -v1, v3, v4
	s_delay_alu instid0(VALU_DEP_1) | instskip(NEXT) | instid1(VALU_DEP_1)
	v_div_fmas_f32 v1, v1, v2, v3
	v_div_fixup_f32 v23, v1, s7, 1.0
	s_mov_b32 s7, 0
	s_branch .LBB1_29
.LBB1_28:                               ;   in Loop: Header=BB1_29 Depth=1
	s_or_b32 exec_lo, exec_lo, s0
	v_add_nc_u32_e32 v0, s12, v0
	s_add_u32 s4, s4, s9
	v_add_nc_u32_e32 v1, 7, v22
	v_add_nc_u32_e32 v22, s6, v22
	s_addc_u32 s5, s5, 0
	v_cmp_le_i32_e32 vcc_lo, s8, v0
	s_add_u32 s10, s10, s9
	s_addc_u32 s11, s11, 0
	global_store_b8 v1, v2, s[2:3]
	s_or_b32 s7, vcc_lo, s7
	s_delay_alu instid0(SALU_CYCLE_1)
	s_and_not1_b32 exec_lo, exec_lo, s7
	s_cbranch_execz .LBB1_157
.LBB1_29:                               ; =>This Inner Loop Header: Depth=1
	v_add_co_u32 v1, s0, s10, v24
	s_delay_alu instid0(VALU_DEP_1) | instskip(SKIP_1) | instid1(VALU_DEP_1)
	v_add_co_ci_u32_e64 v2, null, s11, 0, s0
	v_add_co_u32 v5, s0, s4, v24
	v_add_co_ci_u32_e64 v6, null, s5, 0, s0
	global_load_b128 v[9:12], v[1:2], off
	global_load_b128 v[13:16], v[5:6], off
	global_load_b128 v[1:4], v[1:2], off offset:16
	global_load_b128 v[5:8], v[5:6], off offset:16
	s_mov_b32 s0, exec_lo
	s_waitcnt vmcnt(3)
	v_dual_mov_b32 v26, v18 :: v_dual_mul_f32 v9, v9, v21
	s_waitcnt vmcnt(2)
	s_delay_alu instid0(VALU_DEP_1) | instskip(NEXT) | instid1(VALU_DEP_1)
	v_mul_f32_e32 v9, v9, v13
	v_mul_f32_e32 v9, v23, v9
	s_delay_alu instid0(VALU_DEP_1) | instskip(NEXT) | instid1(VALU_DEP_1)
	v_minmax_f32 v13, v9, s13, 0xc3e00000
	v_lshrrev_b32_e32 v19, 24, v13
	v_and_b32_e32 v25, 0x7f800000, v13
	v_and_b32_e32 v17, 0x7fffff, v13
	s_delay_alu instid0(VALU_DEP_3) | instskip(NEXT) | instid1(VALU_DEP_1)
	v_and_b32_e32 v9, 0x80, v19
	v_or_b32_e32 v20, 0x7e, v9
	s_delay_alu instid0(VALU_DEP_4)
	v_cmpx_ne_u64_e32 0x7f800000, v[25:26]
	s_xor_b32 s14, exec_lo, s0
	s_cbranch_execz .LBB1_43
; %bb.30:                               ;   in Loop: Header=BB1_29 Depth=1
	v_dual_mov_b32 v26, v18 :: v_dual_and_b32 v25, 0x7fffffff, v13
	s_mov_b32 s0, exec_lo
	s_delay_alu instid0(VALU_DEP_1)
	v_cmpx_gt_u64_e32 0x43e00001, v[25:26]
	s_xor_b32 s15, exec_lo, s0
	s_cbranch_execz .LBB1_42
; %bb.31:                               ;   in Loop: Header=BB1_29 Depth=1
	v_mov_b32_e32 v20, 0
	s_mov_b32 s16, exec_lo
	v_cmpx_ne_u32_e32 0, v13
	s_cbranch_execz .LBB1_41
; %bb.32:                               ;   in Loop: Header=BB1_29 Depth=1
	v_bfe_u32 v13, v13, 23, 8
	s_delay_alu instid0(VALU_DEP_1) | instskip(SKIP_2) | instid1(VALU_DEP_3)
	v_sub_nc_u32_e64 v19, 0x79, v13 clamp
	v_cmp_eq_u32_e32 vcc_lo, 0, v13
	v_add_nc_u32_e32 v13, 0xffffff88, v13
	v_cndmask_b32_e64 v29, v19, 0x78, vcc_lo
	v_or_b32_e32 v19, 0x800000, v17
	s_delay_alu instid0(VALU_DEP_3) | instskip(NEXT) | instid1(VALU_DEP_3)
	v_cndmask_b32_e64 v13, v13, 0xffffff89, vcc_lo
	v_add_nc_u32_e32 v20, 20, v29
	s_delay_alu instid0(VALU_DEP_3) | instskip(SKIP_1) | instid1(VALU_DEP_3)
	v_cndmask_b32_e32 v17, v19, v17, vcc_lo
	v_add_nc_u32_e32 v25, 19, v29
	v_lshlrev_b64 v[19:20], v20, -1
	s_delay_alu instid0(VALU_DEP_1) | instskip(NEXT) | instid1(VALU_DEP_2)
	v_not_b32_e32 v26, v20
	v_not_b32_e32 v30, v19
	s_delay_alu instid0(VALU_DEP_4) | instskip(NEXT) | instid1(VALU_DEP_3)
	v_lshlrev_b64 v[19:20], v25, 1
	v_and_b32_e32 v26, 0, v26
	v_lshrrev_b64 v[27:28], v29, v[17:18]
	s_delay_alu instid0(VALU_DEP_4) | instskip(NEXT) | instid1(VALU_DEP_1)
	v_and_b32_e32 v25, v17, v30
	v_cmp_eq_u64_e64 s0, v[25:26], v[19:20]
	s_delay_alu instid0(VALU_DEP_3) | instskip(NEXT) | instid1(VALU_DEP_1)
	v_and_b32_e32 v17, 0x100000, v27
	v_cmp_eq_u64_e64 s1, 0, v[17:18]
	v_lshrrev_b32_e32 v17, 23, v27
	s_delay_alu instid0(VALU_DEP_1) | instskip(NEXT) | instid1(VALU_DEP_3)
	v_add3_u32 v25, v13, v29, v17
	s_and_b32 vcc_lo, s1, s0
	s_mov_b32 s0, exec_lo
	v_subrev_co_ci_u32_e32 v19, vcc_lo, 0, v27, vcc_lo
	s_delay_alu instid0(VALU_DEP_2) | instskip(NEXT) | instid1(VALU_DEP_2)
	v_add_nc_u32_e32 v26, -1, v25
	v_and_b32_e32 v13, 0xfffff, v19
	s_delay_alu instid0(VALU_DEP_1) | instskip(SKIP_1) | instid1(VALU_DEP_4)
	v_add_co_u32 v19, vcc_lo, v13, v27
	v_add_co_ci_u32_e32 v20, vcc_lo, 0, v28, vcc_lo
                                        ; implicit-def: $vgpr13
	v_cmpx_ne_u32_e32 0, v26
	s_xor_b32 s0, exec_lo, s0
; %bb.33:                               ;   in Loop: Header=BB1_29 Depth=1
	s_delay_alu instid0(VALU_DEP_3) | instskip(SKIP_1) | instid1(VALU_DEP_2)
	v_and_b32_e32 v17, 0x1000000, v19
	v_bfe_u32 v13, v19, 24, 1
	v_cmp_eq_u64_e32 vcc_lo, 0, v[17:18]
	s_delay_alu instid0(VALU_DEP_2)
	v_lshrrev_b64 v[19:20], v13, v[19:20]
	v_cndmask_b32_e32 v13, v25, v26, vcc_lo
; %bb.34:                               ;   in Loop: Header=BB1_29 Depth=1
	s_and_not1_saveexec_b32 s0, s0
; %bb.35:                               ;   in Loop: Header=BB1_29 Depth=1
	s_delay_alu instid0(VALU_DEP_2)
	v_bfe_u32 v13, v19, 23, 1
; %bb.36:                               ;   in Loop: Header=BB1_29 Depth=1
	s_or_b32 exec_lo, exec_lo, s0
	s_delay_alu instid0(VALU_DEP_3) | instskip(NEXT) | instid1(VALU_DEP_2)
	v_lshrrev_b64 v[19:20], 20, v[19:20]
	v_cmp_gt_i32_e32 vcc_lo, 16, v13
	v_cmp_ne_u32_e64 s0, 0, v13
	s_delay_alu instid0(VALU_DEP_3) | instskip(NEXT) | instid1(VALU_DEP_1)
	v_dual_cndmask_b32 v20, 0, v20 :: v_dual_cndmask_b32 v19, 7, v19
	v_cmp_ne_u64_e32 vcc_lo, 0, v[19:20]
                                        ; implicit-def: $vgpr20
	s_delay_alu instid0(VALU_DEP_3) | instskip(NEXT) | instid1(SALU_CYCLE_1)
	s_or_b32 s0, s0, vcc_lo
	s_and_saveexec_b32 s1, s0
	s_delay_alu instid0(SALU_CYCLE_1)
	s_xor_b32 s0, exec_lo, s1
; %bb.37:                               ;   in Loop: Header=BB1_29 Depth=1
	v_min_i32_e32 v13, 15, v13
	s_delay_alu instid0(VALU_DEP_1) | instskip(NEXT) | instid1(VALU_DEP_1)
	v_lshl_or_b32 v9, v13, 3, v9
	v_and_or_b32 v20, v19, 7, v9
                                        ; implicit-def: $vgpr9
; %bb.38:                               ;   in Loop: Header=BB1_29 Depth=1
	s_and_not1_saveexec_b32 s0, s0
; %bb.39:                               ;   in Loop: Header=BB1_29 Depth=1
	v_mov_b32_e32 v20, v9
; %bb.40:                               ;   in Loop: Header=BB1_29 Depth=1
	s_or_b32 exec_lo, exec_lo, s0
.LBB1_41:                               ;   in Loop: Header=BB1_29 Depth=1
	s_delay_alu instid0(SALU_CYCLE_1)
	s_or_b32 exec_lo, exec_lo, s16
.LBB1_42:                               ;   in Loop: Header=BB1_29 Depth=1
	s_and_not1_saveexec_b32 s0, s15
	s_delay_alu instid0(SALU_CYCLE_1)
	s_or_b32 exec_lo, exec_lo, s0
                                        ; implicit-def: $vgpr19
.LBB1_43:                               ;   in Loop: Header=BB1_29 Depth=1
	s_and_not1_saveexec_b32 s0, s14
; %bb.44:                               ;   in Loop: Header=BB1_29 Depth=1
	v_cmp_eq_u64_e32 vcc_lo, 0, v[17:18]
	v_or_b32_e32 v9, 0x7f, v19
	s_delay_alu instid0(VALU_DEP_1)
	v_cndmask_b32_e32 v20, v9, v20, vcc_lo
; %bb.45:                               ;   in Loop: Header=BB1_29 Depth=1
	s_or_b32 exec_lo, exec_lo, s0
	v_mul_f32_e32 v9, v10, v21
	global_store_b8 v22, v20, s[2:3]
	s_mov_b32 s0, exec_lo
	v_dual_mov_b32 v26, v18 :: v_dual_mul_f32 v9, v9, v14
	s_delay_alu instid0(VALU_DEP_1) | instskip(NEXT) | instid1(VALU_DEP_1)
	v_mul_f32_e32 v9, v23, v9
	v_minmax_f32 v9, v9, s13, 0xc3e00000
	s_delay_alu instid0(VALU_DEP_1) | instskip(SKIP_2) | instid1(VALU_DEP_3)
	v_lshrrev_b32_e32 v14, 24, v9
	v_and_b32_e32 v25, 0x7f800000, v9
	v_and_b32_e32 v17, 0x7fffff, v9
	;; [unrolled: 1-line block ×3, first 2 shown]
	s_delay_alu instid0(VALU_DEP_1) | instskip(NEXT) | instid1(VALU_DEP_4)
	v_or_b32_e32 v10, 0x7e, v13
	v_cmpx_ne_u64_e32 0x7f800000, v[25:26]
	s_xor_b32 s14, exec_lo, s0
	s_cbranch_execz .LBB1_59
; %bb.46:                               ;   in Loop: Header=BB1_29 Depth=1
	v_dual_mov_b32 v20, v18 :: v_dual_and_b32 v19, 0x7fffffff, v9
	s_mov_b32 s0, exec_lo
	s_delay_alu instid0(VALU_DEP_1)
	v_cmpx_gt_u64_e32 0x43e00001, v[19:20]
	s_xor_b32 s15, exec_lo, s0
	s_cbranch_execz .LBB1_58
; %bb.47:                               ;   in Loop: Header=BB1_29 Depth=1
	v_mov_b32_e32 v10, 0
	s_mov_b32 s16, exec_lo
	v_cmpx_ne_u32_e32 0, v9
	s_cbranch_execz .LBB1_57
; %bb.48:                               ;   in Loop: Header=BB1_29 Depth=1
	v_bfe_u32 v14, v9, 23, 8
	s_delay_alu instid0(VALU_DEP_1) | instskip(SKIP_2) | instid1(VALU_DEP_3)
	v_sub_nc_u32_e64 v9, 0x79, v14 clamp
	v_cmp_eq_u32_e32 vcc_lo, 0, v14
	v_add_nc_u32_e32 v14, 0xffffff88, v14
	v_cndmask_b32_e64 v27, v9, 0x78, vcc_lo
	v_or_b32_e32 v9, 0x800000, v17
	s_delay_alu instid0(VALU_DEP_1) | instskip(SKIP_1) | instid1(VALU_DEP_2)
	v_dual_cndmask_b32 v17, v9, v17 :: v_dual_add_nc_u32 v10, 20, v27
	v_add_nc_u32_e32 v19, 19, v27
	v_lshlrev_b64 v[9:10], v10, -1
	s_delay_alu instid0(VALU_DEP_3) | instskip(NEXT) | instid1(VALU_DEP_2)
	v_lshrrev_b64 v[25:26], v27, v[17:18]
	v_not_b32_e32 v20, v10
	s_delay_alu instid0(VALU_DEP_3) | instskip(SKIP_1) | instid1(VALU_DEP_3)
	v_not_b32_e32 v28, v9
	v_lshlrev_b64 v[9:10], v19, 1
	v_and_b32_e32 v20, 0, v20
	s_delay_alu instid0(VALU_DEP_3) | instskip(SKIP_1) | instid1(VALU_DEP_2)
	v_and_b32_e32 v19, v17, v28
	v_and_b32_e32 v17, 0x100000, v25
	v_cmp_eq_u64_e64 s0, v[19:20], v[9:10]
	s_delay_alu instid0(VALU_DEP_2) | instskip(SKIP_2) | instid1(VALU_DEP_3)
	v_cmp_eq_u64_e64 s1, 0, v[17:18]
	v_cndmask_b32_e64 v9, v14, 0xffffff89, vcc_lo
	v_lshrrev_b32_e32 v10, 23, v25
	s_and_b32 vcc_lo, s1, s0
	s_delay_alu instid0(VALU_DEP_1) | instskip(SKIP_2) | instid1(VALU_DEP_2)
	v_add3_u32 v19, v9, v27, v10
	v_subrev_co_ci_u32_e32 v14, vcc_lo, 0, v25, vcc_lo
	s_mov_b32 s0, exec_lo
	v_add_nc_u32_e32 v20, -1, v19
	s_delay_alu instid0(VALU_DEP_2) | instskip(NEXT) | instid1(VALU_DEP_1)
	v_and_b32_e32 v9, 0xfffff, v14
                                        ; implicit-def: $vgpr14
	v_add_co_u32 v9, vcc_lo, v9, v25
	v_add_co_ci_u32_e32 v10, vcc_lo, 0, v26, vcc_lo
	s_delay_alu instid0(VALU_DEP_4)
	v_cmpx_ne_u32_e32 0, v20
	s_xor_b32 s0, exec_lo, s0
; %bb.49:                               ;   in Loop: Header=BB1_29 Depth=1
	s_delay_alu instid0(VALU_DEP_3) | instskip(SKIP_1) | instid1(VALU_DEP_2)
	v_and_b32_e32 v17, 0x1000000, v9
	v_bfe_u32 v14, v9, 24, 1
	v_cmp_eq_u64_e32 vcc_lo, 0, v[17:18]
	s_delay_alu instid0(VALU_DEP_2)
	v_lshrrev_b64 v[9:10], v14, v[9:10]
	v_cndmask_b32_e32 v14, v19, v20, vcc_lo
; %bb.50:                               ;   in Loop: Header=BB1_29 Depth=1
	s_and_not1_saveexec_b32 s0, s0
; %bb.51:                               ;   in Loop: Header=BB1_29 Depth=1
	s_delay_alu instid0(VALU_DEP_2)
	v_bfe_u32 v14, v9, 23, 1
; %bb.52:                               ;   in Loop: Header=BB1_29 Depth=1
	s_or_b32 exec_lo, exec_lo, s0
	s_delay_alu instid0(VALU_DEP_3) | instskip(NEXT) | instid1(VALU_DEP_2)
	v_lshrrev_b64 v[9:10], 20, v[9:10]
	v_cmp_gt_i32_e32 vcc_lo, 16, v14
	v_cmp_ne_u32_e64 s0, 0, v14
	s_delay_alu instid0(VALU_DEP_3) | instskip(NEXT) | instid1(VALU_DEP_1)
	v_dual_cndmask_b32 v10, 0, v10 :: v_dual_cndmask_b32 v9, 7, v9
	v_cmp_ne_u64_e32 vcc_lo, 0, v[9:10]
                                        ; implicit-def: $vgpr10
	s_delay_alu instid0(VALU_DEP_3) | instskip(NEXT) | instid1(SALU_CYCLE_1)
	s_or_b32 s0, s0, vcc_lo
	s_and_saveexec_b32 s1, s0
	s_delay_alu instid0(SALU_CYCLE_1)
	s_xor_b32 s0, exec_lo, s1
; %bb.53:                               ;   in Loop: Header=BB1_29 Depth=1
	v_min_i32_e32 v10, 15, v14
	s_delay_alu instid0(VALU_DEP_1) | instskip(NEXT) | instid1(VALU_DEP_1)
	v_lshl_or_b32 v10, v10, 3, v13
                                        ; implicit-def: $vgpr13
	v_and_or_b32 v10, v9, 7, v10
; %bb.54:                               ;   in Loop: Header=BB1_29 Depth=1
	s_and_not1_saveexec_b32 s0, s0
; %bb.55:                               ;   in Loop: Header=BB1_29 Depth=1
	v_mov_b32_e32 v10, v13
; %bb.56:                               ;   in Loop: Header=BB1_29 Depth=1
	s_or_b32 exec_lo, exec_lo, s0
.LBB1_57:                               ;   in Loop: Header=BB1_29 Depth=1
	s_delay_alu instid0(SALU_CYCLE_1)
	s_or_b32 exec_lo, exec_lo, s16
.LBB1_58:                               ;   in Loop: Header=BB1_29 Depth=1
	s_and_not1_saveexec_b32 s0, s15
	s_delay_alu instid0(SALU_CYCLE_1)
	s_or_b32 exec_lo, exec_lo, s0
                                        ; implicit-def: $vgpr14
.LBB1_59:                               ;   in Loop: Header=BB1_29 Depth=1
	s_and_not1_saveexec_b32 s0, s14
; %bb.60:                               ;   in Loop: Header=BB1_29 Depth=1
	v_cmp_eq_u64_e32 vcc_lo, 0, v[17:18]
	v_or_b32_e32 v9, 0x7f, v14
	s_delay_alu instid0(VALU_DEP_1)
	v_cndmask_b32_e32 v10, v9, v10, vcc_lo
; %bb.61:                               ;   in Loop: Header=BB1_29 Depth=1
	s_or_b32 exec_lo, exec_lo, s0
	v_dual_mul_f32 v9, v11, v21 :: v_dual_mov_b32 v20, v18
	s_mov_b32 s0, exec_lo
	s_delay_alu instid0(VALU_DEP_1) | instskip(SKIP_1) | instid1(VALU_DEP_2)
	v_mul_f32_e32 v9, v9, v15
	v_add_nc_u32_e32 v15, 1, v22
	v_mul_f32_e32 v9, v23, v9
	global_store_b8 v15, v10, s[2:3]
	v_minmax_f32 v9, v9, s13, 0xc3e00000
	s_delay_alu instid0(VALU_DEP_1) | instskip(SKIP_2) | instid1(VALU_DEP_3)
	v_lshrrev_b32_e32 v14, 24, v9
	v_and_b32_e32 v19, 0x7f800000, v9
	v_and_b32_e32 v17, 0x7fffff, v9
	v_and_b32_e32 v11, 0x80, v14
	s_delay_alu instid0(VALU_DEP_1) | instskip(NEXT) | instid1(VALU_DEP_4)
	v_or_b32_e32 v13, 0x7e, v11
	v_cmpx_ne_u64_e32 0x7f800000, v[19:20]
	s_xor_b32 s14, exec_lo, s0
	s_cbranch_execz .LBB1_75
; %bb.62:                               ;   in Loop: Header=BB1_29 Depth=1
	v_dual_mov_b32 v15, v18 :: v_dual_and_b32 v14, 0x7fffffff, v9
	s_mov_b32 s0, exec_lo
	s_delay_alu instid0(VALU_DEP_1)
	v_cmpx_gt_u64_e32 0x43e00001, v[14:15]
	s_xor_b32 s15, exec_lo, s0
	s_cbranch_execz .LBB1_74
; %bb.63:                               ;   in Loop: Header=BB1_29 Depth=1
	v_mov_b32_e32 v13, 0
	s_mov_b32 s16, exec_lo
	v_cmpx_ne_u32_e32 0, v9
	s_cbranch_execz .LBB1_73
; %bb.64:                               ;   in Loop: Header=BB1_29 Depth=1
	v_bfe_u32 v15, v9, 23, 8
	s_delay_alu instid0(VALU_DEP_1) | instskip(SKIP_2) | instid1(VALU_DEP_3)
	v_sub_nc_u32_e64 v9, 0x79, v15 clamp
	v_cmp_eq_u32_e32 vcc_lo, 0, v15
	v_add_nc_u32_e32 v15, 0xffffff88, v15
	v_cndmask_b32_e64 v25, v9, 0x78, vcc_lo
	v_or_b32_e32 v9, 0x800000, v17
	s_delay_alu instid0(VALU_DEP_2) | instskip(NEXT) | instid1(VALU_DEP_2)
	v_add_nc_u32_e32 v10, 20, v25
	v_cndmask_b32_e32 v17, v9, v17, vcc_lo
	v_add_nc_u32_e32 v13, 19, v25
	s_delay_alu instid0(VALU_DEP_3) | instskip(NEXT) | instid1(VALU_DEP_1)
	v_lshlrev_b64 v[9:10], v10, -1
	v_not_b32_e32 v14, v10
	s_delay_alu instid0(VALU_DEP_2) | instskip(NEXT) | instid1(VALU_DEP_4)
	v_not_b32_e32 v26, v9
	v_lshlrev_b64 v[9:10], v13, 1
	s_delay_alu instid0(VALU_DEP_3) | instskip(SKIP_1) | instid1(VALU_DEP_4)
	v_and_b32_e32 v14, 0, v14
	v_lshrrev_b64 v[19:20], v25, v[17:18]
	v_and_b32_e32 v13, v17, v26
	s_delay_alu instid0(VALU_DEP_1) | instskip(NEXT) | instid1(VALU_DEP_3)
	v_cmp_eq_u64_e64 s0, v[13:14], v[9:10]
	v_and_b32_e32 v17, 0x100000, v19
	v_cndmask_b32_e64 v9, v15, 0xffffff89, vcc_lo
	v_lshrrev_b32_e32 v10, 23, v19
	s_delay_alu instid0(VALU_DEP_3) | instskip(NEXT) | instid1(VALU_DEP_2)
	v_cmp_eq_u64_e64 s1, 0, v[17:18]
	v_add3_u32 v13, v9, v25, v10
	s_delay_alu instid0(VALU_DEP_2) | instskip(NEXT) | instid1(VALU_DEP_1)
	s_and_b32 vcc_lo, s1, s0
	v_add_nc_u32_e32 v15, -1, v13
	v_subrev_co_ci_u32_e32 v14, vcc_lo, 0, v19, vcc_lo
	s_mov_b32 s0, exec_lo
	s_delay_alu instid0(VALU_DEP_1) | instskip(NEXT) | instid1(VALU_DEP_1)
	v_and_b32_e32 v9, 0xfffff, v14
                                        ; implicit-def: $vgpr14
	v_add_co_u32 v9, vcc_lo, v9, v19
	v_add_co_ci_u32_e32 v10, vcc_lo, 0, v20, vcc_lo
	v_cmpx_ne_u32_e32 0, v15
	s_xor_b32 s0, exec_lo, s0
; %bb.65:                               ;   in Loop: Header=BB1_29 Depth=1
	s_delay_alu instid0(VALU_DEP_3) | instskip(SKIP_1) | instid1(VALU_DEP_2)
	v_and_b32_e32 v17, 0x1000000, v9
	v_bfe_u32 v14, v9, 24, 1
	v_cmp_eq_u64_e32 vcc_lo, 0, v[17:18]
	s_delay_alu instid0(VALU_DEP_2)
	v_lshrrev_b64 v[9:10], v14, v[9:10]
	v_cndmask_b32_e32 v14, v13, v15, vcc_lo
; %bb.66:                               ;   in Loop: Header=BB1_29 Depth=1
	s_and_not1_saveexec_b32 s0, s0
; %bb.67:                               ;   in Loop: Header=BB1_29 Depth=1
	s_delay_alu instid0(VALU_DEP_2)
	v_bfe_u32 v14, v9, 23, 1
; %bb.68:                               ;   in Loop: Header=BB1_29 Depth=1
	s_or_b32 exec_lo, exec_lo, s0
	s_delay_alu instid0(VALU_DEP_3) | instskip(NEXT) | instid1(VALU_DEP_2)
	v_lshrrev_b64 v[9:10], 20, v[9:10]
	v_cmp_gt_i32_e32 vcc_lo, 16, v14
	v_cmp_ne_u32_e64 s0, 0, v14
                                        ; implicit-def: $vgpr13
	s_delay_alu instid0(VALU_DEP_3) | instskip(NEXT) | instid1(VALU_DEP_1)
	v_dual_cndmask_b32 v10, 0, v10 :: v_dual_cndmask_b32 v9, 7, v9
	v_cmp_ne_u64_e32 vcc_lo, 0, v[9:10]
	s_delay_alu instid0(VALU_DEP_3) | instskip(NEXT) | instid1(SALU_CYCLE_1)
	s_or_b32 s0, s0, vcc_lo
	s_and_saveexec_b32 s1, s0
	s_delay_alu instid0(SALU_CYCLE_1)
	s_xor_b32 s0, exec_lo, s1
; %bb.69:                               ;   in Loop: Header=BB1_29 Depth=1
	v_min_i32_e32 v10, 15, v14
	s_delay_alu instid0(VALU_DEP_1) | instskip(NEXT) | instid1(VALU_DEP_1)
	v_lshl_or_b32 v10, v10, 3, v11
                                        ; implicit-def: $vgpr11
	v_and_or_b32 v13, v9, 7, v10
; %bb.70:                               ;   in Loop: Header=BB1_29 Depth=1
	s_and_not1_saveexec_b32 s0, s0
; %bb.71:                               ;   in Loop: Header=BB1_29 Depth=1
	v_mov_b32_e32 v13, v11
; %bb.72:                               ;   in Loop: Header=BB1_29 Depth=1
	s_or_b32 exec_lo, exec_lo, s0
.LBB1_73:                               ;   in Loop: Header=BB1_29 Depth=1
	s_delay_alu instid0(SALU_CYCLE_1)
	s_or_b32 exec_lo, exec_lo, s16
.LBB1_74:                               ;   in Loop: Header=BB1_29 Depth=1
	s_and_not1_saveexec_b32 s0, s15
	s_delay_alu instid0(SALU_CYCLE_1)
	s_or_b32 exec_lo, exec_lo, s0
                                        ; implicit-def: $vgpr14
.LBB1_75:                               ;   in Loop: Header=BB1_29 Depth=1
	s_and_not1_saveexec_b32 s0, s14
; %bb.76:                               ;   in Loop: Header=BB1_29 Depth=1
	v_cmp_eq_u64_e32 vcc_lo, 0, v[17:18]
	v_or_b32_e32 v9, 0x7f, v14
	s_delay_alu instid0(VALU_DEP_1)
	v_cndmask_b32_e32 v13, v9, v13, vcc_lo
; %bb.77:                               ;   in Loop: Header=BB1_29 Depth=1
	s_or_b32 exec_lo, exec_lo, s0
	v_mul_f32_e32 v9, v12, v21
	s_mov_b32 s0, exec_lo
	v_mov_b32_e32 v15, v18
	s_delay_alu instid0(VALU_DEP_2) | instskip(NEXT) | instid1(VALU_DEP_1)
	v_dual_mul_f32 v9, v9, v16 :: v_dual_add_nc_u32 v16, 2, v22
	v_mul_f32_e32 v9, v23, v9
	global_store_b8 v16, v13, s[2:3]
	v_minmax_f32 v9, v9, s13, 0xc3e00000
	s_delay_alu instid0(VALU_DEP_1) | instskip(SKIP_2) | instid1(VALU_DEP_3)
	v_lshrrev_b32_e32 v12, 24, v9
	v_and_b32_e32 v14, 0x7f800000, v9
	v_and_b32_e32 v17, 0x7fffff, v9
	;; [unrolled: 1-line block ×3, first 2 shown]
	s_delay_alu instid0(VALU_DEP_1) | instskip(NEXT) | instid1(VALU_DEP_4)
	v_or_b32_e32 v10, 0x7e, v11
	v_cmpx_ne_u64_e32 0x7f800000, v[14:15]
	s_xor_b32 s14, exec_lo, s0
	s_cbranch_execz .LBB1_91
; %bb.78:                               ;   in Loop: Header=BB1_29 Depth=1
	v_dual_mov_b32 v13, v18 :: v_dual_and_b32 v12, 0x7fffffff, v9
	s_mov_b32 s0, exec_lo
	s_delay_alu instid0(VALU_DEP_1)
	v_cmpx_gt_u64_e32 0x43e00001, v[12:13]
	s_xor_b32 s15, exec_lo, s0
	s_cbranch_execz .LBB1_90
; %bb.79:                               ;   in Loop: Header=BB1_29 Depth=1
	v_mov_b32_e32 v10, 0
	s_mov_b32 s16, exec_lo
	v_cmpx_ne_u32_e32 0, v9
	s_cbranch_execz .LBB1_89
; %bb.80:                               ;   in Loop: Header=BB1_29 Depth=1
	v_bfe_u32 v14, v9, 23, 8
	s_delay_alu instid0(VALU_DEP_1) | instskip(SKIP_2) | instid1(VALU_DEP_3)
	v_sub_nc_u32_e64 v9, 0x79, v14 clamp
	v_cmp_eq_u32_e32 vcc_lo, 0, v14
	v_add_nc_u32_e32 v14, 0xffffff88, v14
	v_cndmask_b32_e64 v19, v9, 0x78, vcc_lo
	v_or_b32_e32 v9, 0x800000, v17
	s_delay_alu instid0(VALU_DEP_1) | instskip(SKIP_1) | instid1(VALU_DEP_2)
	v_dual_cndmask_b32 v17, v9, v17 :: v_dual_add_nc_u32 v10, 20, v19
	v_add_nc_u32_e32 v12, 19, v19
	v_lshlrev_b64 v[9:10], v10, -1
	s_delay_alu instid0(VALU_DEP_3) | instskip(NEXT) | instid1(VALU_DEP_2)
	v_lshrrev_b64 v[15:16], v19, v[17:18]
	v_not_b32_e32 v13, v10
	s_delay_alu instid0(VALU_DEP_3) | instskip(SKIP_1) | instid1(VALU_DEP_3)
	v_not_b32_e32 v20, v9
	v_lshlrev_b64 v[9:10], v12, 1
	v_and_b32_e32 v13, 0, v13
	s_delay_alu instid0(VALU_DEP_3) | instskip(SKIP_1) | instid1(VALU_DEP_2)
	v_and_b32_e32 v12, v17, v20
	v_and_b32_e32 v17, 0x100000, v15
	v_cmp_eq_u64_e64 s0, v[12:13], v[9:10]
	s_delay_alu instid0(VALU_DEP_2) | instskip(SKIP_2) | instid1(VALU_DEP_3)
	v_cmp_eq_u64_e64 s1, 0, v[17:18]
	v_cndmask_b32_e64 v9, v14, 0xffffff89, vcc_lo
	v_lshrrev_b32_e32 v10, 23, v15
	s_and_b32 vcc_lo, s1, s0
	s_delay_alu instid0(VALU_DEP_1) | instskip(SKIP_2) | instid1(VALU_DEP_2)
	v_add3_u32 v13, v9, v19, v10
	v_subrev_co_ci_u32_e32 v12, vcc_lo, 0, v15, vcc_lo
	s_mov_b32 s0, exec_lo
	v_add_nc_u32_e32 v14, -1, v13
	s_delay_alu instid0(VALU_DEP_2) | instskip(NEXT) | instid1(VALU_DEP_1)
	v_and_b32_e32 v9, 0xfffff, v12
                                        ; implicit-def: $vgpr12
	v_add_co_u32 v9, vcc_lo, v9, v15
	v_add_co_ci_u32_e32 v10, vcc_lo, 0, v16, vcc_lo
	s_delay_alu instid0(VALU_DEP_4)
	v_cmpx_ne_u32_e32 0, v14
	s_xor_b32 s0, exec_lo, s0
; %bb.81:                               ;   in Loop: Header=BB1_29 Depth=1
	s_delay_alu instid0(VALU_DEP_3) | instskip(SKIP_1) | instid1(VALU_DEP_2)
	v_and_b32_e32 v17, 0x1000000, v9
	v_bfe_u32 v12, v9, 24, 1
	v_cmp_eq_u64_e32 vcc_lo, 0, v[17:18]
	s_delay_alu instid0(VALU_DEP_2)
	v_lshrrev_b64 v[9:10], v12, v[9:10]
	v_cndmask_b32_e32 v12, v13, v14, vcc_lo
; %bb.82:                               ;   in Loop: Header=BB1_29 Depth=1
	s_and_not1_saveexec_b32 s0, s0
; %bb.83:                               ;   in Loop: Header=BB1_29 Depth=1
	s_delay_alu instid0(VALU_DEP_2)
	v_bfe_u32 v12, v9, 23, 1
; %bb.84:                               ;   in Loop: Header=BB1_29 Depth=1
	s_or_b32 exec_lo, exec_lo, s0
	s_delay_alu instid0(VALU_DEP_3) | instskip(NEXT) | instid1(VALU_DEP_2)
	v_lshrrev_b64 v[9:10], 20, v[9:10]
	v_cmp_gt_i32_e32 vcc_lo, 16, v12
	v_cmp_ne_u32_e64 s0, 0, v12
	s_delay_alu instid0(VALU_DEP_3) | instskip(NEXT) | instid1(VALU_DEP_1)
	v_dual_cndmask_b32 v10, 0, v10 :: v_dual_cndmask_b32 v9, 7, v9
	v_cmp_ne_u64_e32 vcc_lo, 0, v[9:10]
                                        ; implicit-def: $vgpr10
	s_delay_alu instid0(VALU_DEP_3) | instskip(NEXT) | instid1(SALU_CYCLE_1)
	s_or_b32 s0, s0, vcc_lo
	s_and_saveexec_b32 s1, s0
	s_delay_alu instid0(SALU_CYCLE_1)
	s_xor_b32 s0, exec_lo, s1
; %bb.85:                               ;   in Loop: Header=BB1_29 Depth=1
	v_min_i32_e32 v10, 15, v12
	s_delay_alu instid0(VALU_DEP_1) | instskip(NEXT) | instid1(VALU_DEP_1)
	v_lshl_or_b32 v10, v10, 3, v11
                                        ; implicit-def: $vgpr11
	v_and_or_b32 v10, v9, 7, v10
; %bb.86:                               ;   in Loop: Header=BB1_29 Depth=1
	s_and_not1_saveexec_b32 s0, s0
; %bb.87:                               ;   in Loop: Header=BB1_29 Depth=1
	v_mov_b32_e32 v10, v11
; %bb.88:                               ;   in Loop: Header=BB1_29 Depth=1
	s_or_b32 exec_lo, exec_lo, s0
.LBB1_89:                               ;   in Loop: Header=BB1_29 Depth=1
	s_delay_alu instid0(SALU_CYCLE_1)
	s_or_b32 exec_lo, exec_lo, s16
.LBB1_90:                               ;   in Loop: Header=BB1_29 Depth=1
	s_and_not1_saveexec_b32 s0, s15
	s_delay_alu instid0(SALU_CYCLE_1)
	s_or_b32 exec_lo, exec_lo, s0
                                        ; implicit-def: $vgpr12
.LBB1_91:                               ;   in Loop: Header=BB1_29 Depth=1
	s_and_not1_saveexec_b32 s0, s14
; %bb.92:                               ;   in Loop: Header=BB1_29 Depth=1
	v_cmp_eq_u64_e32 vcc_lo, 0, v[17:18]
	v_or_b32_e32 v9, 0x7f, v12
	s_delay_alu instid0(VALU_DEP_1)
	v_cndmask_b32_e32 v10, v9, v10, vcc_lo
; %bb.93:                               ;   in Loop: Header=BB1_29 Depth=1
	s_or_b32 exec_lo, exec_lo, s0
	s_waitcnt vmcnt(1)
	v_dual_mul_f32 v1, v1, v21 :: v_dual_mov_b32 v12, v18
	v_add_nc_u32_e32 v13, 3, v22
	s_waitcnt vmcnt(0)
	s_delay_alu instid0(VALU_DEP_2) | instskip(SKIP_2) | instid1(VALU_DEP_1)
	v_mul_f32_e32 v1, v1, v5
	global_store_b8 v13, v10, s[2:3]
	v_mul_f32_e32 v1, v23, v1
	v_minmax_f32 v5, v1, s13, 0xc3e00000
	s_delay_alu instid0(VALU_DEP_1) | instskip(SKIP_2) | instid1(VALU_DEP_3)
	v_lshrrev_b32_e32 v9, 24, v5
	v_and_b32_e32 v11, 0x7f800000, v5
	v_and_b32_e32 v17, 0x7fffff, v5
	;; [unrolled: 1-line block ×3, first 2 shown]
	s_delay_alu instid0(VALU_DEP_3) | instskip(NEXT) | instid1(VALU_DEP_2)
	v_cmp_ne_u64_e32 vcc_lo, 0x7f800000, v[11:12]
	v_or_b32_e32 v11, 0x7e, v1
	s_and_saveexec_b32 s0, vcc_lo
	s_delay_alu instid0(SALU_CYCLE_1)
	s_xor_b32 s14, exec_lo, s0
	s_cbranch_execz .LBB1_107
; %bb.94:                               ;   in Loop: Header=BB1_29 Depth=1
	v_dual_mov_b32 v10, v18 :: v_dual_and_b32 v9, 0x7fffffff, v5
	s_mov_b32 s0, exec_lo
	s_delay_alu instid0(VALU_DEP_1)
	v_cmpx_gt_u64_e32 0x43e00001, v[9:10]
	s_xor_b32 s15, exec_lo, s0
	s_cbranch_execz .LBB1_106
; %bb.95:                               ;   in Loop: Header=BB1_29 Depth=1
	v_mov_b32_e32 v11, 0
	s_mov_b32 s16, exec_lo
	v_cmpx_ne_u32_e32 0, v5
	s_cbranch_execz .LBB1_105
; %bb.96:                               ;   in Loop: Header=BB1_29 Depth=1
	v_bfe_u32 v5, v5, 23, 8
	s_delay_alu instid0(VALU_DEP_1) | instskip(SKIP_2) | instid1(VALU_DEP_3)
	v_sub_nc_u32_e64 v9, 0x79, v5 clamp
	v_cmp_eq_u32_e32 vcc_lo, 0, v5
	v_add_nc_u32_e32 v5, 0xffffff88, v5
	v_cndmask_b32_e64 v15, v9, 0x78, vcc_lo
	v_or_b32_e32 v9, 0x800000, v17
	s_delay_alu instid0(VALU_DEP_3) | instskip(NEXT) | instid1(VALU_DEP_2)
	v_cndmask_b32_e64 v5, v5, 0xffffff89, vcc_lo
	v_dual_cndmask_b32 v17, v9, v17 :: v_dual_add_nc_u32 v10, 20, v15
	v_add_nc_u32_e32 v11, 19, v15
	s_delay_alu instid0(VALU_DEP_2) | instskip(NEXT) | instid1(VALU_DEP_3)
	v_lshlrev_b64 v[9:10], v10, -1
	v_lshrrev_b64 v[13:14], v15, v[17:18]
	s_delay_alu instid0(VALU_DEP_2) | instskip(NEXT) | instid1(VALU_DEP_3)
	v_not_b32_e32 v12, v10
	v_not_b32_e32 v16, v9
	v_lshlrev_b64 v[9:10], v11, 1
	s_delay_alu instid0(VALU_DEP_3) | instskip(NEXT) | instid1(VALU_DEP_3)
	v_and_b32_e32 v12, 0, v12
	v_and_b32_e32 v11, v17, v16
	;; [unrolled: 1-line block ×3, first 2 shown]
	s_delay_alu instid0(VALU_DEP_2) | instskip(NEXT) | instid1(VALU_DEP_2)
	v_cmp_eq_u64_e64 s0, v[11:12], v[9:10]
	v_cmp_eq_u64_e64 s1, 0, v[17:18]
	v_lshrrev_b32_e32 v9, 23, v13
	s_delay_alu instid0(VALU_DEP_1) | instskip(NEXT) | instid1(VALU_DEP_3)
	v_add3_u32 v11, v5, v15, v9
	s_and_b32 vcc_lo, s1, s0
	s_mov_b32 s0, exec_lo
	v_subrev_co_ci_u32_e32 v10, vcc_lo, 0, v13, vcc_lo
	s_delay_alu instid0(VALU_DEP_2) | instskip(NEXT) | instid1(VALU_DEP_2)
	v_add_nc_u32_e32 v12, -1, v11
	v_and_b32_e32 v5, 0xfffff, v10
	s_delay_alu instid0(VALU_DEP_1) | instskip(SKIP_1) | instid1(VALU_DEP_4)
	v_add_co_u32 v9, vcc_lo, v5, v13
	v_add_co_ci_u32_e32 v10, vcc_lo, 0, v14, vcc_lo
                                        ; implicit-def: $vgpr5
	v_cmpx_ne_u32_e32 0, v12
	s_xor_b32 s0, exec_lo, s0
; %bb.97:                               ;   in Loop: Header=BB1_29 Depth=1
	s_delay_alu instid0(VALU_DEP_3) | instskip(SKIP_1) | instid1(VALU_DEP_2)
	v_and_b32_e32 v17, 0x1000000, v9
	v_bfe_u32 v5, v9, 24, 1
	v_cmp_eq_u64_e32 vcc_lo, 0, v[17:18]
	s_delay_alu instid0(VALU_DEP_2)
	v_lshrrev_b64 v[9:10], v5, v[9:10]
	v_cndmask_b32_e32 v5, v11, v12, vcc_lo
; %bb.98:                               ;   in Loop: Header=BB1_29 Depth=1
	s_and_not1_saveexec_b32 s0, s0
; %bb.99:                               ;   in Loop: Header=BB1_29 Depth=1
	s_delay_alu instid0(VALU_DEP_2)
	v_bfe_u32 v5, v9, 23, 1
; %bb.100:                              ;   in Loop: Header=BB1_29 Depth=1
	s_or_b32 exec_lo, exec_lo, s0
	s_delay_alu instid0(VALU_DEP_3) | instskip(NEXT) | instid1(VALU_DEP_2)
	v_lshrrev_b64 v[9:10], 20, v[9:10]
	v_cmp_gt_i32_e32 vcc_lo, 16, v5
	v_cmp_ne_u32_e64 s0, 0, v5
                                        ; implicit-def: $vgpr11
	s_delay_alu instid0(VALU_DEP_3) | instskip(NEXT) | instid1(VALU_DEP_1)
	v_dual_cndmask_b32 v10, 0, v10 :: v_dual_cndmask_b32 v9, 7, v9
	v_cmp_ne_u64_e32 vcc_lo, 0, v[9:10]
	s_delay_alu instid0(VALU_DEP_3) | instskip(NEXT) | instid1(SALU_CYCLE_1)
	s_or_b32 s0, s0, vcc_lo
	s_and_saveexec_b32 s1, s0
	s_delay_alu instid0(SALU_CYCLE_1)
	s_xor_b32 s0, exec_lo, s1
; %bb.101:                              ;   in Loop: Header=BB1_29 Depth=1
	v_min_i32_e32 v5, 15, v5
	s_delay_alu instid0(VALU_DEP_1) | instskip(NEXT) | instid1(VALU_DEP_1)
	v_lshl_or_b32 v1, v5, 3, v1
	v_and_or_b32 v11, v9, 7, v1
                                        ; implicit-def: $vgpr1
; %bb.102:                              ;   in Loop: Header=BB1_29 Depth=1
	s_and_not1_saveexec_b32 s0, s0
; %bb.103:                              ;   in Loop: Header=BB1_29 Depth=1
	v_mov_b32_e32 v11, v1
; %bb.104:                              ;   in Loop: Header=BB1_29 Depth=1
	s_or_b32 exec_lo, exec_lo, s0
.LBB1_105:                              ;   in Loop: Header=BB1_29 Depth=1
	s_delay_alu instid0(SALU_CYCLE_1)
	s_or_b32 exec_lo, exec_lo, s16
.LBB1_106:                              ;   in Loop: Header=BB1_29 Depth=1
	s_and_not1_saveexec_b32 s0, s15
	s_delay_alu instid0(SALU_CYCLE_1)
	s_or_b32 exec_lo, exec_lo, s0
                                        ; implicit-def: $vgpr9
.LBB1_107:                              ;   in Loop: Header=BB1_29 Depth=1
	s_and_not1_saveexec_b32 s0, s14
; %bb.108:                              ;   in Loop: Header=BB1_29 Depth=1
	v_cmp_eq_u64_e32 vcc_lo, 0, v[17:18]
	v_or_b32_e32 v1, 0x7f, v9
	s_delay_alu instid0(VALU_DEP_1)
	v_cndmask_b32_e32 v11, v1, v11, vcc_lo
; %bb.109:                              ;   in Loop: Header=BB1_29 Depth=1
	s_or_b32 exec_lo, exec_lo, s0
	v_dual_mul_f32 v1, v2, v21 :: v_dual_add_nc_u32 v12, 4, v22
	s_mov_b32 s0, exec_lo
	s_delay_alu instid0(VALU_DEP_1) | instskip(SKIP_2) | instid1(VALU_DEP_1)
	v_dual_mov_b32 v10, v18 :: v_dual_mul_f32 v1, v1, v6
	global_store_b8 v12, v11, s[2:3]
	v_mul_f32_e32 v1, v23, v1
	v_minmax_f32 v1, v1, s13, 0xc3e00000
	s_delay_alu instid0(VALU_DEP_1) | instskip(SKIP_2) | instid1(VALU_DEP_3)
	v_lshrrev_b32_e32 v6, 24, v1
	v_and_b32_e32 v9, 0x7f800000, v1
	v_and_b32_e32 v17, 0x7fffff, v1
	;; [unrolled: 1-line block ×3, first 2 shown]
	s_delay_alu instid0(VALU_DEP_1) | instskip(NEXT) | instid1(VALU_DEP_4)
	v_or_b32_e32 v2, 0x7e, v5
	v_cmpx_ne_u64_e32 0x7f800000, v[9:10]
	s_xor_b32 s14, exec_lo, s0
	s_cbranch_execz .LBB1_123
; %bb.110:                              ;   in Loop: Header=BB1_29 Depth=1
	v_dual_mov_b32 v10, v18 :: v_dual_and_b32 v9, 0x7fffffff, v1
	s_mov_b32 s0, exec_lo
	s_delay_alu instid0(VALU_DEP_1)
	v_cmpx_gt_u64_e32 0x43e00001, v[9:10]
	s_xor_b32 s15, exec_lo, s0
	s_cbranch_execz .LBB1_122
; %bb.111:                              ;   in Loop: Header=BB1_29 Depth=1
	v_mov_b32_e32 v2, 0
	s_mov_b32 s16, exec_lo
	v_cmpx_ne_u32_e32 0, v1
	s_cbranch_execz .LBB1_121
; %bb.112:                              ;   in Loop: Header=BB1_29 Depth=1
	v_bfe_u32 v6, v1, 23, 8
	s_delay_alu instid0(VALU_DEP_1) | instskip(SKIP_2) | instid1(VALU_DEP_3)
	v_sub_nc_u32_e64 v1, 0x79, v6 clamp
	v_cmp_eq_u32_e32 vcc_lo, 0, v6
	v_add_nc_u32_e32 v6, 0xffffff88, v6
	v_cndmask_b32_e64 v13, v1, 0x78, vcc_lo
	v_or_b32_e32 v1, 0x800000, v17
	s_delay_alu instid0(VALU_DEP_2) | instskip(NEXT) | instid1(VALU_DEP_2)
	v_add_nc_u32_e32 v2, 20, v13
	v_cndmask_b32_e32 v17, v1, v17, vcc_lo
	v_add_nc_u32_e32 v9, 19, v13
	s_delay_alu instid0(VALU_DEP_3) | instskip(NEXT) | instid1(VALU_DEP_1)
	v_lshlrev_b64 v[1:2], v2, -1
	v_not_b32_e32 v10, v2
	s_delay_alu instid0(VALU_DEP_2) | instskip(NEXT) | instid1(VALU_DEP_4)
	v_not_b32_e32 v14, v1
	v_lshlrev_b64 v[1:2], v9, 1
	s_delay_alu instid0(VALU_DEP_3) | instskip(SKIP_1) | instid1(VALU_DEP_4)
	v_and_b32_e32 v10, 0, v10
	v_lshrrev_b64 v[11:12], v13, v[17:18]
	v_and_b32_e32 v9, v17, v14
	s_delay_alu instid0(VALU_DEP_1) | instskip(NEXT) | instid1(VALU_DEP_3)
	v_cmp_eq_u64_e64 s0, v[9:10], v[1:2]
	v_and_b32_e32 v17, 0x100000, v11
	v_cndmask_b32_e64 v1, v6, 0xffffff89, vcc_lo
	v_lshrrev_b32_e32 v2, 23, v11
	s_delay_alu instid0(VALU_DEP_3) | instskip(NEXT) | instid1(VALU_DEP_2)
	v_cmp_eq_u64_e64 s1, 0, v[17:18]
	v_add3_u32 v9, v1, v13, v2
	s_delay_alu instid0(VALU_DEP_2) | instskip(NEXT) | instid1(VALU_DEP_1)
	s_and_b32 vcc_lo, s1, s0
	v_add_nc_u32_e32 v10, -1, v9
	v_subrev_co_ci_u32_e32 v6, vcc_lo, 0, v11, vcc_lo
	s_mov_b32 s0, exec_lo
	s_delay_alu instid0(VALU_DEP_1) | instskip(NEXT) | instid1(VALU_DEP_1)
	v_and_b32_e32 v1, 0xfffff, v6
                                        ; implicit-def: $vgpr6
	v_add_co_u32 v1, vcc_lo, v1, v11
	v_add_co_ci_u32_e32 v2, vcc_lo, 0, v12, vcc_lo
	v_cmpx_ne_u32_e32 0, v10
	s_xor_b32 s0, exec_lo, s0
; %bb.113:                              ;   in Loop: Header=BB1_29 Depth=1
	s_delay_alu instid0(VALU_DEP_3) | instskip(SKIP_1) | instid1(VALU_DEP_2)
	v_and_b32_e32 v17, 0x1000000, v1
	v_bfe_u32 v6, v1, 24, 1
	v_cmp_eq_u64_e32 vcc_lo, 0, v[17:18]
	s_delay_alu instid0(VALU_DEP_2)
	v_lshrrev_b64 v[1:2], v6, v[1:2]
	v_cndmask_b32_e32 v6, v9, v10, vcc_lo
; %bb.114:                              ;   in Loop: Header=BB1_29 Depth=1
	s_and_not1_saveexec_b32 s0, s0
; %bb.115:                              ;   in Loop: Header=BB1_29 Depth=1
	s_delay_alu instid0(VALU_DEP_2)
	v_bfe_u32 v6, v1, 23, 1
; %bb.116:                              ;   in Loop: Header=BB1_29 Depth=1
	s_or_b32 exec_lo, exec_lo, s0
	s_delay_alu instid0(VALU_DEP_3) | instskip(NEXT) | instid1(VALU_DEP_2)
	v_lshrrev_b64 v[1:2], 20, v[1:2]
	v_cmp_gt_i32_e32 vcc_lo, 16, v6
	v_cmp_ne_u32_e64 s0, 0, v6
	s_delay_alu instid0(VALU_DEP_3) | instskip(NEXT) | instid1(VALU_DEP_1)
	v_dual_cndmask_b32 v2, 0, v2 :: v_dual_cndmask_b32 v1, 7, v1
	v_cmp_ne_u64_e32 vcc_lo, 0, v[1:2]
                                        ; implicit-def: $vgpr2
	s_delay_alu instid0(VALU_DEP_3) | instskip(NEXT) | instid1(SALU_CYCLE_1)
	s_or_b32 s0, s0, vcc_lo
	s_and_saveexec_b32 s1, s0
	s_delay_alu instid0(SALU_CYCLE_1)
	s_xor_b32 s0, exec_lo, s1
; %bb.117:                              ;   in Loop: Header=BB1_29 Depth=1
	v_min_i32_e32 v2, 15, v6
	s_delay_alu instid0(VALU_DEP_1) | instskip(NEXT) | instid1(VALU_DEP_1)
	v_lshl_or_b32 v2, v2, 3, v5
                                        ; implicit-def: $vgpr5
	v_and_or_b32 v2, v1, 7, v2
; %bb.118:                              ;   in Loop: Header=BB1_29 Depth=1
	s_and_not1_saveexec_b32 s0, s0
; %bb.119:                              ;   in Loop: Header=BB1_29 Depth=1
	v_mov_b32_e32 v2, v5
; %bb.120:                              ;   in Loop: Header=BB1_29 Depth=1
	s_or_b32 exec_lo, exec_lo, s0
.LBB1_121:                              ;   in Loop: Header=BB1_29 Depth=1
	s_delay_alu instid0(SALU_CYCLE_1)
	s_or_b32 exec_lo, exec_lo, s16
.LBB1_122:                              ;   in Loop: Header=BB1_29 Depth=1
	s_and_not1_saveexec_b32 s0, s15
	s_delay_alu instid0(SALU_CYCLE_1)
	s_or_b32 exec_lo, exec_lo, s0
                                        ; implicit-def: $vgpr6
.LBB1_123:                              ;   in Loop: Header=BB1_29 Depth=1
	s_and_not1_saveexec_b32 s0, s14
; %bb.124:                              ;   in Loop: Header=BB1_29 Depth=1
	v_cmp_eq_u64_e32 vcc_lo, 0, v[17:18]
	v_or_b32_e32 v1, 0x7f, v6
	s_delay_alu instid0(VALU_DEP_1)
	v_cndmask_b32_e32 v2, v1, v2, vcc_lo
; %bb.125:                              ;   in Loop: Header=BB1_29 Depth=1
	s_or_b32 exec_lo, exec_lo, s0
	v_dual_mul_f32 v1, v3, v21 :: v_dual_mov_b32 v10, v18
	s_mov_b32 s0, exec_lo
	s_delay_alu instid0(VALU_DEP_1) | instskip(SKIP_1) | instid1(VALU_DEP_2)
	v_mul_f32_e32 v1, v1, v7
	v_add_nc_u32_e32 v7, 5, v22
	v_mul_f32_e32 v1, v23, v1
	global_store_b8 v7, v2, s[2:3]
	v_minmax_f32 v1, v1, s13, 0xc3e00000
	s_delay_alu instid0(VALU_DEP_1) | instskip(SKIP_2) | instid1(VALU_DEP_3)
	v_lshrrev_b32_e32 v6, 24, v1
	v_and_b32_e32 v9, 0x7f800000, v1
	v_and_b32_e32 v17, 0x7fffff, v1
	;; [unrolled: 1-line block ×3, first 2 shown]
	s_delay_alu instid0(VALU_DEP_1) | instskip(NEXT) | instid1(VALU_DEP_4)
	v_or_b32_e32 v5, 0x7e, v3
	v_cmpx_ne_u64_e32 0x7f800000, v[9:10]
	s_xor_b32 s14, exec_lo, s0
	s_cbranch_execz .LBB1_139
; %bb.126:                              ;   in Loop: Header=BB1_29 Depth=1
	v_dual_mov_b32 v7, v18 :: v_dual_and_b32 v6, 0x7fffffff, v1
	s_mov_b32 s0, exec_lo
	s_delay_alu instid0(VALU_DEP_1)
	v_cmpx_gt_u64_e32 0x43e00001, v[6:7]
	s_xor_b32 s15, exec_lo, s0
	s_cbranch_execz .LBB1_138
; %bb.127:                              ;   in Loop: Header=BB1_29 Depth=1
	v_mov_b32_e32 v5, 0
	s_mov_b32 s16, exec_lo
	v_cmpx_ne_u32_e32 0, v1
	s_cbranch_execz .LBB1_137
; %bb.128:                              ;   in Loop: Header=BB1_29 Depth=1
	v_bfe_u32 v7, v1, 23, 8
	s_delay_alu instid0(VALU_DEP_1) | instskip(SKIP_2) | instid1(VALU_DEP_3)
	v_sub_nc_u32_e64 v1, 0x79, v7 clamp
	v_cmp_eq_u32_e32 vcc_lo, 0, v7
	v_add_nc_u32_e32 v7, 0xffffff88, v7
	v_cndmask_b32_e64 v11, v1, 0x78, vcc_lo
	v_or_b32_e32 v1, 0x800000, v17
	s_delay_alu instid0(VALU_DEP_1) | instskip(SKIP_1) | instid1(VALU_DEP_2)
	v_dual_cndmask_b32 v17, v1, v17 :: v_dual_add_nc_u32 v2, 20, v11
	v_add_nc_u32_e32 v5, 19, v11
	v_lshlrev_b64 v[1:2], v2, -1
	s_delay_alu instid0(VALU_DEP_3) | instskip(NEXT) | instid1(VALU_DEP_2)
	v_lshrrev_b64 v[9:10], v11, v[17:18]
	v_not_b32_e32 v6, v2
	s_delay_alu instid0(VALU_DEP_3) | instskip(SKIP_1) | instid1(VALU_DEP_3)
	v_not_b32_e32 v12, v1
	v_lshlrev_b64 v[1:2], v5, 1
	v_and_b32_e32 v6, 0, v6
	s_delay_alu instid0(VALU_DEP_3) | instskip(SKIP_1) | instid1(VALU_DEP_2)
	v_and_b32_e32 v5, v17, v12
	v_and_b32_e32 v17, 0x100000, v9
	v_cmp_eq_u64_e64 s0, v[5:6], v[1:2]
	s_delay_alu instid0(VALU_DEP_2) | instskip(SKIP_2) | instid1(VALU_DEP_3)
	v_cmp_eq_u64_e64 s1, 0, v[17:18]
	v_cndmask_b32_e64 v1, v7, 0xffffff89, vcc_lo
	v_lshrrev_b32_e32 v2, 23, v9
	s_and_b32 vcc_lo, s1, s0
	s_delay_alu instid0(VALU_DEP_1) | instskip(SKIP_2) | instid1(VALU_DEP_2)
	v_add3_u32 v5, v1, v11, v2
	v_subrev_co_ci_u32_e32 v6, vcc_lo, 0, v9, vcc_lo
	s_mov_b32 s0, exec_lo
	v_add_nc_u32_e32 v7, -1, v5
	s_delay_alu instid0(VALU_DEP_2) | instskip(NEXT) | instid1(VALU_DEP_1)
	v_and_b32_e32 v1, 0xfffff, v6
                                        ; implicit-def: $vgpr6
	v_add_co_u32 v1, vcc_lo, v1, v9
	v_add_co_ci_u32_e32 v2, vcc_lo, 0, v10, vcc_lo
	s_delay_alu instid0(VALU_DEP_4)
	v_cmpx_ne_u32_e32 0, v7
	s_xor_b32 s0, exec_lo, s0
; %bb.129:                              ;   in Loop: Header=BB1_29 Depth=1
	s_delay_alu instid0(VALU_DEP_3) | instskip(SKIP_1) | instid1(VALU_DEP_2)
	v_and_b32_e32 v17, 0x1000000, v1
	v_bfe_u32 v6, v1, 24, 1
	v_cmp_eq_u64_e32 vcc_lo, 0, v[17:18]
	s_delay_alu instid0(VALU_DEP_2)
	v_lshrrev_b64 v[1:2], v6, v[1:2]
	v_cndmask_b32_e32 v6, v5, v7, vcc_lo
; %bb.130:                              ;   in Loop: Header=BB1_29 Depth=1
	s_and_not1_saveexec_b32 s0, s0
; %bb.131:                              ;   in Loop: Header=BB1_29 Depth=1
	s_delay_alu instid0(VALU_DEP_2)
	v_bfe_u32 v6, v1, 23, 1
; %bb.132:                              ;   in Loop: Header=BB1_29 Depth=1
	s_or_b32 exec_lo, exec_lo, s0
	s_delay_alu instid0(VALU_DEP_3) | instskip(NEXT) | instid1(VALU_DEP_2)
	v_lshrrev_b64 v[1:2], 20, v[1:2]
	v_cmp_gt_i32_e32 vcc_lo, 16, v6
	v_cmp_ne_u32_e64 s0, 0, v6
                                        ; implicit-def: $vgpr5
	s_delay_alu instid0(VALU_DEP_3) | instskip(NEXT) | instid1(VALU_DEP_1)
	v_dual_cndmask_b32 v2, 0, v2 :: v_dual_cndmask_b32 v1, 7, v1
	v_cmp_ne_u64_e32 vcc_lo, 0, v[1:2]
	s_delay_alu instid0(VALU_DEP_3) | instskip(NEXT) | instid1(SALU_CYCLE_1)
	s_or_b32 s0, s0, vcc_lo
	s_and_saveexec_b32 s1, s0
	s_delay_alu instid0(SALU_CYCLE_1)
	s_xor_b32 s0, exec_lo, s1
; %bb.133:                              ;   in Loop: Header=BB1_29 Depth=1
	v_min_i32_e32 v2, 15, v6
	s_delay_alu instid0(VALU_DEP_1) | instskip(NEXT) | instid1(VALU_DEP_1)
	v_lshl_or_b32 v2, v2, 3, v3
                                        ; implicit-def: $vgpr3
	v_and_or_b32 v5, v1, 7, v2
; %bb.134:                              ;   in Loop: Header=BB1_29 Depth=1
	s_and_not1_saveexec_b32 s0, s0
; %bb.135:                              ;   in Loop: Header=BB1_29 Depth=1
	v_mov_b32_e32 v5, v3
; %bb.136:                              ;   in Loop: Header=BB1_29 Depth=1
	s_or_b32 exec_lo, exec_lo, s0
.LBB1_137:                              ;   in Loop: Header=BB1_29 Depth=1
	s_delay_alu instid0(SALU_CYCLE_1)
	s_or_b32 exec_lo, exec_lo, s16
.LBB1_138:                              ;   in Loop: Header=BB1_29 Depth=1
	s_and_not1_saveexec_b32 s0, s15
	s_delay_alu instid0(SALU_CYCLE_1)
	s_or_b32 exec_lo, exec_lo, s0
                                        ; implicit-def: $vgpr6
.LBB1_139:                              ;   in Loop: Header=BB1_29 Depth=1
	s_and_not1_saveexec_b32 s0, s14
; %bb.140:                              ;   in Loop: Header=BB1_29 Depth=1
	v_cmp_eq_u64_e32 vcc_lo, 0, v[17:18]
	v_or_b32_e32 v1, 0x7f, v6
	s_delay_alu instid0(VALU_DEP_1)
	v_cndmask_b32_e32 v5, v1, v5, vcc_lo
; %bb.141:                              ;   in Loop: Header=BB1_29 Depth=1
	s_or_b32 exec_lo, exec_lo, s0
	v_mul_f32_e32 v1, v4, v21
	s_mov_b32 s0, exec_lo
	v_mov_b32_e32 v7, v18
	s_delay_alu instid0(VALU_DEP_2) | instskip(NEXT) | instid1(VALU_DEP_1)
	v_dual_mul_f32 v1, v1, v8 :: v_dual_add_nc_u32 v8, 6, v22
	v_mul_f32_e32 v1, v23, v1
	global_store_b8 v8, v5, s[2:3]
	v_minmax_f32 v1, v1, s13, 0xc3e00000
	s_delay_alu instid0(VALU_DEP_1) | instskip(SKIP_2) | instid1(VALU_DEP_3)
	v_lshrrev_b32_e32 v4, 24, v1
	v_and_b32_e32 v6, 0x7f800000, v1
	v_and_b32_e32 v17, 0x7fffff, v1
	;; [unrolled: 1-line block ×3, first 2 shown]
	s_delay_alu instid0(VALU_DEP_1) | instskip(NEXT) | instid1(VALU_DEP_4)
	v_or_b32_e32 v2, 0x7e, v3
	v_cmpx_ne_u64_e32 0x7f800000, v[6:7]
	s_xor_b32 s14, exec_lo, s0
	s_cbranch_execz .LBB1_155
; %bb.142:                              ;   in Loop: Header=BB1_29 Depth=1
	v_dual_mov_b32 v5, v18 :: v_dual_and_b32 v4, 0x7fffffff, v1
	s_mov_b32 s0, exec_lo
	s_delay_alu instid0(VALU_DEP_1)
	v_cmpx_gt_u64_e32 0x43e00001, v[4:5]
	s_xor_b32 s15, exec_lo, s0
	s_cbranch_execz .LBB1_154
; %bb.143:                              ;   in Loop: Header=BB1_29 Depth=1
	v_mov_b32_e32 v2, 0
	s_mov_b32 s16, exec_lo
	v_cmpx_ne_u32_e32 0, v1
	s_cbranch_execz .LBB1_153
; %bb.144:                              ;   in Loop: Header=BB1_29 Depth=1
	v_bfe_u32 v6, v1, 23, 8
	s_delay_alu instid0(VALU_DEP_1) | instskip(SKIP_2) | instid1(VALU_DEP_3)
	v_sub_nc_u32_e64 v1, 0x79, v6 clamp
	v_cmp_eq_u32_e32 vcc_lo, 0, v6
	v_add_nc_u32_e32 v6, 0xffffff88, v6
	v_cndmask_b32_e64 v9, v1, 0x78, vcc_lo
	v_or_b32_e32 v1, 0x800000, v17
	s_delay_alu instid0(VALU_DEP_2) | instskip(NEXT) | instid1(VALU_DEP_2)
	v_add_nc_u32_e32 v2, 20, v9
	v_cndmask_b32_e32 v17, v1, v17, vcc_lo
	v_add_nc_u32_e32 v4, 19, v9
	s_delay_alu instid0(VALU_DEP_3) | instskip(NEXT) | instid1(VALU_DEP_3)
	v_lshlrev_b64 v[1:2], v2, -1
	v_lshrrev_b64 v[7:8], v9, v[17:18]
	s_delay_alu instid0(VALU_DEP_2) | instskip(NEXT) | instid1(VALU_DEP_3)
	v_not_b32_e32 v5, v2
	v_not_b32_e32 v10, v1
	v_lshlrev_b64 v[1:2], v4, 1
	s_delay_alu instid0(VALU_DEP_3) | instskip(NEXT) | instid1(VALU_DEP_3)
	v_and_b32_e32 v5, 0, v5
	v_and_b32_e32 v4, v17, v10
	;; [unrolled: 1-line block ×3, first 2 shown]
	s_delay_alu instid0(VALU_DEP_2) | instskip(NEXT) | instid1(VALU_DEP_2)
	v_cmp_eq_u64_e64 s0, v[4:5], v[1:2]
	v_cmp_eq_u64_e64 s1, 0, v[17:18]
	v_cndmask_b32_e64 v1, v6, 0xffffff89, vcc_lo
	v_lshrrev_b32_e32 v2, 23, v7
	s_delay_alu instid0(VALU_DEP_3) | instskip(NEXT) | instid1(VALU_DEP_1)
	s_and_b32 vcc_lo, s1, s0
	v_add3_u32 v5, v1, v9, v2
	v_subrev_co_ci_u32_e32 v4, vcc_lo, 0, v7, vcc_lo
	s_mov_b32 s0, exec_lo
	s_delay_alu instid0(VALU_DEP_2) | instskip(NEXT) | instid1(VALU_DEP_2)
	v_add_nc_u32_e32 v6, -1, v5
	v_and_b32_e32 v1, 0xfffff, v4
                                        ; implicit-def: $vgpr4
	s_delay_alu instid0(VALU_DEP_1) | instskip(SKIP_1) | instid1(VALU_DEP_4)
	v_add_co_u32 v1, vcc_lo, v1, v7
	v_add_co_ci_u32_e32 v2, vcc_lo, 0, v8, vcc_lo
	v_cmpx_ne_u32_e32 0, v6
	s_xor_b32 s0, exec_lo, s0
; %bb.145:                              ;   in Loop: Header=BB1_29 Depth=1
	s_delay_alu instid0(VALU_DEP_3) | instskip(SKIP_1) | instid1(VALU_DEP_2)
	v_and_b32_e32 v17, 0x1000000, v1
	v_bfe_u32 v4, v1, 24, 1
	v_cmp_eq_u64_e32 vcc_lo, 0, v[17:18]
	s_delay_alu instid0(VALU_DEP_2)
	v_lshrrev_b64 v[1:2], v4, v[1:2]
	v_cndmask_b32_e32 v4, v5, v6, vcc_lo
; %bb.146:                              ;   in Loop: Header=BB1_29 Depth=1
	s_and_not1_saveexec_b32 s0, s0
; %bb.147:                              ;   in Loop: Header=BB1_29 Depth=1
	s_delay_alu instid0(VALU_DEP_2)
	v_bfe_u32 v4, v1, 23, 1
; %bb.148:                              ;   in Loop: Header=BB1_29 Depth=1
	s_or_b32 exec_lo, exec_lo, s0
	s_delay_alu instid0(VALU_DEP_3) | instskip(NEXT) | instid1(VALU_DEP_2)
	v_lshrrev_b64 v[1:2], 20, v[1:2]
	v_cmp_gt_i32_e32 vcc_lo, 16, v4
	v_cmp_ne_u32_e64 s0, 0, v4
	s_delay_alu instid0(VALU_DEP_3) | instskip(NEXT) | instid1(VALU_DEP_1)
	v_dual_cndmask_b32 v2, 0, v2 :: v_dual_cndmask_b32 v1, 7, v1
	v_cmp_ne_u64_e32 vcc_lo, 0, v[1:2]
                                        ; implicit-def: $vgpr2
	s_delay_alu instid0(VALU_DEP_3) | instskip(NEXT) | instid1(SALU_CYCLE_1)
	s_or_b32 s0, s0, vcc_lo
	s_and_saveexec_b32 s1, s0
	s_delay_alu instid0(SALU_CYCLE_1)
	s_xor_b32 s0, exec_lo, s1
; %bb.149:                              ;   in Loop: Header=BB1_29 Depth=1
	v_min_i32_e32 v2, 15, v4
	s_delay_alu instid0(VALU_DEP_1) | instskip(NEXT) | instid1(VALU_DEP_1)
	v_lshl_or_b32 v2, v2, 3, v3
                                        ; implicit-def: $vgpr3
	v_and_or_b32 v2, v1, 7, v2
; %bb.150:                              ;   in Loop: Header=BB1_29 Depth=1
	s_and_not1_saveexec_b32 s0, s0
; %bb.151:                              ;   in Loop: Header=BB1_29 Depth=1
	v_mov_b32_e32 v2, v3
; %bb.152:                              ;   in Loop: Header=BB1_29 Depth=1
	s_or_b32 exec_lo, exec_lo, s0
.LBB1_153:                              ;   in Loop: Header=BB1_29 Depth=1
	s_delay_alu instid0(SALU_CYCLE_1)
	s_or_b32 exec_lo, exec_lo, s16
.LBB1_154:                              ;   in Loop: Header=BB1_29 Depth=1
	s_and_not1_saveexec_b32 s0, s15
	s_delay_alu instid0(SALU_CYCLE_1)
	s_or_b32 exec_lo, exec_lo, s0
                                        ; implicit-def: $vgpr4
.LBB1_155:                              ;   in Loop: Header=BB1_29 Depth=1
	s_and_not1_saveexec_b32 s0, s14
	s_cbranch_execz .LBB1_28
; %bb.156:                              ;   in Loop: Header=BB1_29 Depth=1
	v_cmp_eq_u64_e32 vcc_lo, 0, v[17:18]
	v_or_b32_e32 v1, 0x7f, v4
	s_delay_alu instid0(VALU_DEP_1)
	v_cndmask_b32_e32 v2, v1, v2, vcc_lo
	s_branch .LBB1_28
.LBB1_157:
	s_nop 0
	s_sendmsg sendmsg(MSG_DEALLOC_VGPRS)
	s_endpgm
	.section	.rodata,"a",@progbits
	.p2align	6, 0x0
	.amdhsa_kernel _ZN4vllm32rms_norm_static_fp8_quant_kernelIfN3c1013Float8_e4m3fnELi8EEEvPT0_PKT_iS7_PKffii
		.amdhsa_group_segment_fixed_size 132
		.amdhsa_private_segment_fixed_size 0
		.amdhsa_kernarg_size 312
		.amdhsa_user_sgpr_count 15
		.amdhsa_user_sgpr_dispatch_ptr 0
		.amdhsa_user_sgpr_queue_ptr 0
		.amdhsa_user_sgpr_kernarg_segment_ptr 1
		.amdhsa_user_sgpr_dispatch_id 0
		.amdhsa_user_sgpr_private_segment_size 0
		.amdhsa_wavefront_size32 1
		.amdhsa_uses_dynamic_stack 0
		.amdhsa_enable_private_segment 0
		.amdhsa_system_sgpr_workgroup_id_x 1
		.amdhsa_system_sgpr_workgroup_id_y 0
		.amdhsa_system_sgpr_workgroup_id_z 0
		.amdhsa_system_sgpr_workgroup_info 0
		.amdhsa_system_vgpr_workitem_id 0
		.amdhsa_next_free_vgpr 31
		.amdhsa_next_free_sgpr 20
		.amdhsa_reserve_vcc 1
		.amdhsa_float_round_mode_32 0
		.amdhsa_float_round_mode_16_64 0
		.amdhsa_float_denorm_mode_32 3
		.amdhsa_float_denorm_mode_16_64 3
		.amdhsa_dx10_clamp 1
		.amdhsa_ieee_mode 1
		.amdhsa_fp16_overflow 0
		.amdhsa_workgroup_processor_mode 1
		.amdhsa_memory_ordered 1
		.amdhsa_forward_progress 0
		.amdhsa_shared_vgpr_count 0
		.amdhsa_exception_fp_ieee_invalid_op 0
		.amdhsa_exception_fp_denorm_src 0
		.amdhsa_exception_fp_ieee_div_zero 0
		.amdhsa_exception_fp_ieee_overflow 0
		.amdhsa_exception_fp_ieee_underflow 0
		.amdhsa_exception_fp_ieee_inexact 0
		.amdhsa_exception_int_div_zero 0
	.end_amdhsa_kernel
	.section	.text._ZN4vllm32rms_norm_static_fp8_quant_kernelIfN3c1013Float8_e4m3fnELi8EEEvPT0_PKT_iS7_PKffii,"axG",@progbits,_ZN4vllm32rms_norm_static_fp8_quant_kernelIfN3c1013Float8_e4m3fnELi8EEEvPT0_PKT_iS7_PKffii,comdat
.Lfunc_end1:
	.size	_ZN4vllm32rms_norm_static_fp8_quant_kernelIfN3c1013Float8_e4m3fnELi8EEEvPT0_PKT_iS7_PKffii, .Lfunc_end1-_ZN4vllm32rms_norm_static_fp8_quant_kernelIfN3c1013Float8_e4m3fnELi8EEEvPT0_PKT_iS7_PKffii
                                        ; -- End function
	.section	.AMDGPU.csdata,"",@progbits
; Kernel info:
; codeLenInByte = 6752
; NumSgprs: 22
; NumVgprs: 31
; ScratchSize: 0
; MemoryBound: 1
; FloatMode: 240
; IeeeMode: 1
; LDSByteSize: 132 bytes/workgroup (compile time only)
; SGPRBlocks: 2
; VGPRBlocks: 3
; NumSGPRsForWavesPerEU: 22
; NumVGPRsForWavesPerEU: 31
; Occupancy: 16
; WaveLimiterHint : 0
; COMPUTE_PGM_RSRC2:SCRATCH_EN: 0
; COMPUTE_PGM_RSRC2:USER_SGPR: 15
; COMPUTE_PGM_RSRC2:TRAP_HANDLER: 0
; COMPUTE_PGM_RSRC2:TGID_X_EN: 1
; COMPUTE_PGM_RSRC2:TGID_Y_EN: 0
; COMPUTE_PGM_RSRC2:TGID_Z_EN: 0
; COMPUTE_PGM_RSRC2:TIDIG_COMP_CNT: 0
	.section	.text._ZN4vllm32rms_norm_static_fp8_quant_kernelIfN3c1013Float8_e4m3fnELi4EEEvPT0_PKT_iS7_PKffii,"axG",@progbits,_ZN4vllm32rms_norm_static_fp8_quant_kernelIfN3c1013Float8_e4m3fnELi4EEEvPT0_PKT_iS7_PKffii,comdat
	.protected	_ZN4vllm32rms_norm_static_fp8_quant_kernelIfN3c1013Float8_e4m3fnELi4EEEvPT0_PKT_iS7_PKffii ; -- Begin function _ZN4vllm32rms_norm_static_fp8_quant_kernelIfN3c1013Float8_e4m3fnELi4EEEvPT0_PKT_iS7_PKffii
	.globl	_ZN4vllm32rms_norm_static_fp8_quant_kernelIfN3c1013Float8_e4m3fnELi4EEEvPT0_PKT_iS7_PKffii
	.p2align	8
	.type	_ZN4vllm32rms_norm_static_fp8_quant_kernelIfN3c1013Float8_e4m3fnELi4EEEvPT0_PKT_iS7_PKffii,@function
_ZN4vllm32rms_norm_static_fp8_quant_kernelIfN3c1013Float8_e4m3fnELi4EEEvPT0_PKT_iS7_PKffii: ; @_ZN4vllm32rms_norm_static_fp8_quant_kernelIfN3c1013Float8_e4m3fnELi4EEEvPT0_PKT_iS7_PKffii
; %bb.0:
	s_clause 0x3
	s_load_b32 s2, s[0:1], 0x10
	s_load_b64 s[4:5], s[0:1], 0x8
	s_load_b32 s8, s[0:1], 0x44
	s_load_b32 s13, s[0:1], 0x30
	s_mov_b32 s3, 0
	s_waitcnt lgkmcnt(0)
	s_mul_i32 s2, s15, s2
	s_delay_alu instid0(SALU_CYCLE_1) | instskip(NEXT) | instid1(SALU_CYCLE_1)
	s_lshl_b64 s[6:7], s[2:3], 2
	s_add_u32 s10, s4, s6
	s_addc_u32 s11, s5, s7
	s_and_b32 s2, s10, 15
	s_and_b32 s12, s8, 0xffff
	s_cmp_lg_u64 s[2:3], 0
	s_cselect_b32 s2, -1, 0
	s_and_b32 s3, s13, 3
	s_delay_alu instid0(SALU_CYCLE_1) | instskip(SKIP_1) | instid1(SALU_CYCLE_1)
	s_cmp_lg_u32 s3, 0
	s_cselect_b32 s3, -1, 0
	s_or_b32 s2, s2, s3
	s_delay_alu instid0(SALU_CYCLE_1)
	s_and_b32 vcc_lo, exec_lo, s2
	s_cbranch_vccz .LBB2_14
; %bb.1:
	s_sub_i32 s2, 0, s10
	v_mov_b32_e32 v4, 0
	s_bfe_u32 s2, s2, 0x20002
	s_mov_b32 s3, exec_lo
	s_min_i32 s8, s2, s13
	s_delay_alu instid0(SALU_CYCLE_1)
	v_cmpx_gt_i32_e64 s8, v0
	s_cbranch_execz .LBB2_5
; %bb.2:
	v_dual_mov_b32 v4, 0 :: v_dual_lshlrev_b32 v1, 2, v0
	s_add_u32 s2, s4, s6
	s_addc_u32 s9, s5, s7
	v_mov_b32_e32 v3, v0
	s_delay_alu instid0(VALU_DEP_2) | instskip(NEXT) | instid1(VALU_DEP_1)
	v_add_co_u32 v1, s2, s2, v1
	v_add_co_ci_u32_e64 v2, null, s9, 0, s2
	s_mov_b32 s9, 0
	s_lshl_b32 s14, s12, 2
.LBB2_3:                                ; =>This Inner Loop Header: Depth=1
	global_load_b32 v5, v[1:2], off
	v_add_nc_u32_e32 v3, s12, v3
	v_add_co_u32 v1, vcc_lo, v1, s14
	v_add_co_ci_u32_e32 v2, vcc_lo, 0, v2, vcc_lo
	s_waitcnt vmcnt(0)
	v_fmac_f32_e32 v4, v5, v5
	v_cmp_le_i32_e64 s2, s8, v3
	s_delay_alu instid0(VALU_DEP_1) | instskip(NEXT) | instid1(SALU_CYCLE_1)
	s_or_b32 s9, s2, s9
	s_and_not1_b32 exec_lo, exec_lo, s9
	s_cbranch_execnz .LBB2_3
; %bb.4:
	s_or_b32 exec_lo, exec_lo, s9
.LBB2_5:
	s_delay_alu instid0(SALU_CYCLE_1)
	s_or_b32 exec_lo, exec_lo, s3
	s_sub_i32 s3, s13, s8
	s_ashr_i32 s9, s8, 31
	s_ashr_i32 s2, s3, 31
	s_mov_b32 s16, exec_lo
	s_lshr_b32 s2, s2, 30
	s_delay_alu instid0(SALU_CYCLE_1) | instskip(NEXT) | instid1(SALU_CYCLE_1)
	s_add_i32 s2, s3, s2
	s_ashr_i32 s14, s2, 2
	s_delay_alu instid0(SALU_CYCLE_1)
	v_cmpx_gt_i32_e64 s14, v0
	s_cbranch_execz .LBB2_9
; %bb.6:
	v_lshlrev_b32_e32 v1, 4, v0
	s_lshl_b64 s[18:19], s[8:9], 2
	s_add_u32 s2, s4, s6
	s_addc_u32 s17, s5, s7
	s_add_u32 s2, s2, s18
	s_addc_u32 s17, s17, s19
	v_add_co_u32 v1, s2, s2, v1
	s_delay_alu instid0(VALU_DEP_1) | instskip(SKIP_1) | instid1(VALU_DEP_3)
	v_add_co_ci_u32_e64 v2, null, s17, 0, s2
	v_mov_b32_e32 v3, v0
	v_add_co_u32 v1, vcc_lo, v1, 8
	s_delay_alu instid0(VALU_DEP_3)
	v_add_co_ci_u32_e32 v2, vcc_lo, 0, v2, vcc_lo
	s_mov_b32 s17, 0
	s_lshl_b32 s18, s12, 4
.LBB2_7:                                ; =>This Inner Loop Header: Depth=1
	global_load_b128 v[5:8], v[1:2], off offset:-8
	v_add_co_u32 v1, vcc_lo, v1, s18
	v_add_co_ci_u32_e32 v2, vcc_lo, 0, v2, vcc_lo
	v_add_nc_u32_e32 v3, s12, v3
	s_delay_alu instid0(VALU_DEP_1) | instskip(NEXT) | instid1(VALU_DEP_1)
	v_cmp_le_i32_e64 s2, s14, v3
	s_or_b32 s17, s2, s17
	s_waitcnt vmcnt(0)
	v_fmac_f32_e32 v4, v5, v5
	s_delay_alu instid0(VALU_DEP_1) | instskip(NEXT) | instid1(VALU_DEP_1)
	v_fmac_f32_e32 v4, v6, v6
	v_fmac_f32_e32 v4, v7, v7
	s_delay_alu instid0(VALU_DEP_1)
	v_fmac_f32_e32 v4, v8, v8
	s_and_not1_b32 exec_lo, exec_lo, s17
	s_cbranch_execnz .LBB2_7
; %bb.8:
	s_or_b32 exec_lo, exec_lo, s17
.LBB2_9:
	s_delay_alu instid0(SALU_CYCLE_1) | instskip(SKIP_2) | instid1(VALU_DEP_1)
	s_or_b32 exec_lo, exec_lo, s16
	v_lshl_add_u32 v1, s14, 2, v0
	s_mov_b32 s14, exec_lo
	v_cmpx_gt_i32_e64 s3, v1
	s_cbranch_execz .LBB2_13
; %bb.10:
	v_ashrrev_i32_e32 v2, 31, v1
	s_lshl_b64 s[8:9], s[8:9], 2
	s_add_u32 s2, s4, s6
	s_addc_u32 s16, s5, s7
	s_add_u32 s2, s2, s8
	v_lshlrev_b64 v[2:3], 2, v[1:2]
	s_addc_u32 s8, s16, s9
	s_lshl_b32 s9, s12, 2
	s_delay_alu instid0(VALU_DEP_1) | instskip(NEXT) | instid1(VALU_DEP_2)
	v_add_co_u32 v2, vcc_lo, s2, v2
	v_add_co_ci_u32_e32 v3, vcc_lo, s8, v3, vcc_lo
	s_mov_b32 s8, 0
.LBB2_11:                               ; =>This Inner Loop Header: Depth=1
	global_load_b32 v5, v[2:3], off
	v_add_nc_u32_e32 v1, s12, v1
	v_add_co_u32 v2, vcc_lo, v2, s9
	v_add_co_ci_u32_e32 v3, vcc_lo, 0, v3, vcc_lo
	s_delay_alu instid0(VALU_DEP_3) | instskip(NEXT) | instid1(VALU_DEP_1)
	v_cmp_le_i32_e64 s2, s3, v1
	s_or_b32 s8, s2, s8
	s_waitcnt vmcnt(0)
	v_fmac_f32_e32 v4, v5, v5
	s_and_not1_b32 exec_lo, exec_lo, s8
	s_cbranch_execnz .LBB2_11
; %bb.12:
	s_or_b32 exec_lo, exec_lo, s8
.LBB2_13:
	s_delay_alu instid0(SALU_CYCLE_1)
	s_or_b32 exec_lo, exec_lo, s14
	s_branch .LBB2_20
.LBB2_14:
                                        ; implicit-def: $vgpr4
	s_cbranch_execz .LBB2_20
; %bb.15:
	v_mov_b32_e32 v4, 0
	s_ashr_i32 s8, s13, 2
	s_mov_b32 s3, exec_lo
	v_cmpx_gt_i32_e64 s8, v0
	s_cbranch_execz .LBB2_19
; %bb.16:
	v_dual_mov_b32 v4, 0 :: v_dual_lshlrev_b32 v1, 4, v0
	s_add_u32 s2, s4, s6
	s_addc_u32 s4, s5, s7
	v_mov_b32_e32 v3, v0
	s_delay_alu instid0(VALU_DEP_2) | instskip(NEXT) | instid1(VALU_DEP_1)
	v_add_co_u32 v1, s2, s2, v1
	v_add_co_ci_u32_e64 v2, null, s4, 0, s2
	s_mov_b32 s4, 0
	s_delay_alu instid0(VALU_DEP_2) | instskip(NEXT) | instid1(VALU_DEP_2)
	v_add_co_u32 v1, vcc_lo, v1, 8
	v_add_co_ci_u32_e32 v2, vcc_lo, 0, v2, vcc_lo
	s_lshl_b32 s5, s12, 4
.LBB2_17:                               ; =>This Inner Loop Header: Depth=1
	global_load_b128 v[5:8], v[1:2], off offset:-8
	v_add_co_u32 v1, vcc_lo, v1, s5
	v_add_co_ci_u32_e32 v2, vcc_lo, 0, v2, vcc_lo
	v_add_nc_u32_e32 v3, s12, v3
	s_delay_alu instid0(VALU_DEP_1) | instskip(NEXT) | instid1(VALU_DEP_1)
	v_cmp_le_i32_e64 s2, s8, v3
	s_or_b32 s4, s2, s4
	s_waitcnt vmcnt(0)
	v_fmac_f32_e32 v4, v5, v5
	s_delay_alu instid0(VALU_DEP_1) | instskip(NEXT) | instid1(VALU_DEP_1)
	v_fmac_f32_e32 v4, v6, v6
	v_fmac_f32_e32 v4, v7, v7
	s_delay_alu instid0(VALU_DEP_1)
	v_fmac_f32_e32 v4, v8, v8
	s_and_not1_b32 exec_lo, exec_lo, s4
	s_cbranch_execnz .LBB2_17
; %bb.18:
	s_or_b32 exec_lo, exec_lo, s4
.LBB2_19:
	s_delay_alu instid0(SALU_CYCLE_1)
	s_or_b32 exec_lo, exec_lo, s3
.LBB2_20:
	v_mbcnt_lo_u32_b32 v1, -1, 0
	v_and_b32_e32 v3, 0x3e0, v0
	s_mov_b32 s2, exec_lo
	s_delay_alu instid0(VALU_DEP_2) | instskip(NEXT) | instid1(VALU_DEP_2)
	v_cmp_ne_u32_e32 vcc_lo, 31, v1
	v_sub_nc_u32_e64 v12, s12, v3 clamp
	v_add_nc_u32_e32 v3, 1, v1
	v_add_co_ci_u32_e32 v2, vcc_lo, 0, v1, vcc_lo
	v_cmp_gt_u32_e32 vcc_lo, 30, v1
	s_delay_alu instid0(VALU_DEP_2)
	v_lshlrev_b32_e32 v2, 2, v2
	v_cndmask_b32_e64 v6, 0, 1, vcc_lo
	v_cmp_lt_u32_e32 vcc_lo, v3, v12
	ds_bpermute_b32 v5, v2, v4
	s_waitcnt lgkmcnt(0)
	v_dual_add_f32 v7, v4, v5 :: v_dual_lshlrev_b32 v6, 1, v6
	s_delay_alu instid0(VALU_DEP_1) | instskip(NEXT) | instid1(VALU_DEP_2)
	v_cndmask_b32_e32 v7, v4, v7, vcc_lo
	v_add_lshl_u32 v5, v6, v1, 2
	v_cmp_gt_u32_e32 vcc_lo, 28, v1
	ds_bpermute_b32 v6, v5, v7
	v_cndmask_b32_e64 v4, 0, 1, vcc_lo
	s_delay_alu instid0(VALU_DEP_1) | instskip(SKIP_1) | instid1(VALU_DEP_1)
	v_lshlrev_b32_e32 v8, 2, v4
	v_add_nc_u32_e32 v4, 2, v1
	v_cmp_lt_u32_e32 vcc_lo, v4, v12
	s_waitcnt lgkmcnt(0)
	v_add_f32_e32 v9, v7, v6
	v_add_lshl_u32 v6, v8, v1, 2
	s_delay_alu instid0(VALU_DEP_2) | instskip(SKIP_2) | instid1(VALU_DEP_1)
	v_cndmask_b32_e32 v9, v7, v9, vcc_lo
	v_cmp_gt_u32_e32 vcc_lo, 24, v1
	v_cndmask_b32_e64 v7, 0, 1, vcc_lo
	v_lshlrev_b32_e32 v10, 3, v7
	ds_bpermute_b32 v8, v6, v9
	v_add_nc_u32_e32 v7, 4, v1
	s_delay_alu instid0(VALU_DEP_1) | instskip(SKIP_3) | instid1(VALU_DEP_2)
	v_cmp_lt_u32_e32 vcc_lo, v7, v12
	s_waitcnt lgkmcnt(0)
	v_add_f32_e32 v11, v9, v8
	v_add_lshl_u32 v8, v10, v1, 2
	v_cndmask_b32_e32 v11, v9, v11, vcc_lo
	v_cmp_gt_u32_e32 vcc_lo, 16, v1
	ds_bpermute_b32 v10, v8, v11
	v_cndmask_b32_e64 v9, 0, 1, vcc_lo
	s_delay_alu instid0(VALU_DEP_1) | instskip(SKIP_1) | instid1(VALU_DEP_1)
	v_lshlrev_b32_e32 v13, 4, v9
	v_add_nc_u32_e32 v9, 8, v1
	v_cmp_lt_u32_e32 vcc_lo, v9, v12
	s_waitcnt lgkmcnt(0)
	v_add_f32_e32 v14, v11, v10
	v_add_lshl_u32 v10, v13, v1, 2
	s_delay_alu instid0(VALU_DEP_2)
	v_cndmask_b32_e32 v13, v11, v14, vcc_lo
	v_add_nc_u32_e32 v11, 16, v1
	ds_bpermute_b32 v14, v10, v13
	v_cmp_lt_u32_e32 vcc_lo, v11, v12
	s_waitcnt lgkmcnt(0)
	v_add_f32_e32 v14, v13, v14
	s_delay_alu instid0(VALU_DEP_1)
	v_cndmask_b32_e32 v12, v13, v14, vcc_lo
	v_cmpx_eq_u32_e32 0, v1
	s_cbranch_execz .LBB2_22
; %bb.21:
	v_lshrrev_b32_e32 v13, 3, v0
	s_delay_alu instid0(VALU_DEP_1)
	v_and_b32_e32 v13, 0x7c, v13
	ds_store_b32 v13, v12
.LBB2_22:
	s_or_b32 exec_lo, exec_lo, s2
	s_delay_alu instid0(SALU_CYCLE_1)
	s_mov_b32 s2, exec_lo
	s_waitcnt lgkmcnt(0)
	s_barrier
	buffer_gl0_inv
	v_cmpx_gt_u32_e32 32, v0
	s_cbranch_execz .LBB2_24
; %bb.23:
	v_lshlrev_b32_e32 v1, 2, v1
	s_add_i32 s3, s12, 31
	s_delay_alu instid0(SALU_CYCLE_1) | instskip(NEXT) | instid1(SALU_CYCLE_1)
	s_lshr_b32 s3, s3, 5
	v_cmp_gt_u32_e32 vcc_lo, s3, v3
	ds_load_b32 v1, v1
	s_waitcnt lgkmcnt(0)
	ds_bpermute_b32 v2, v2, v1
	s_waitcnt lgkmcnt(0)
	v_add_f32_e32 v2, v1, v2
	s_delay_alu instid0(VALU_DEP_1) | instskip(SKIP_4) | instid1(VALU_DEP_1)
	v_cndmask_b32_e32 v1, v1, v2, vcc_lo
	v_cmp_gt_u32_e32 vcc_lo, s3, v4
	ds_bpermute_b32 v2, v5, v1
	s_waitcnt lgkmcnt(0)
	v_add_f32_e32 v2, v1, v2
	v_cndmask_b32_e32 v1, v1, v2, vcc_lo
	v_cmp_gt_u32_e32 vcc_lo, s3, v7
	ds_bpermute_b32 v2, v6, v1
	s_waitcnt lgkmcnt(0)
	v_add_f32_e32 v2, v1, v2
	s_delay_alu instid0(VALU_DEP_1) | instskip(SKIP_4) | instid1(VALU_DEP_1)
	v_cndmask_b32_e32 v1, v1, v2, vcc_lo
	v_cmp_gt_u32_e32 vcc_lo, s3, v9
	ds_bpermute_b32 v2, v8, v1
	s_waitcnt lgkmcnt(0)
	v_add_f32_e32 v2, v1, v2
	v_cndmask_b32_e32 v1, v1, v2, vcc_lo
	v_cmp_gt_u32_e32 vcc_lo, s3, v11
	ds_bpermute_b32 v2, v10, v1
	s_waitcnt lgkmcnt(0)
	v_add_f32_e32 v2, v1, v2
	s_delay_alu instid0(VALU_DEP_1)
	v_cndmask_b32_e32 v12, v1, v2, vcc_lo
.LBB2_24:
	s_or_b32 exec_lo, exec_lo, s2
	s_delay_alu instid0(SALU_CYCLE_1)
	s_mov_b32 s2, exec_lo
	v_cmpx_eq_u32_e32 0, v0
	s_cbranch_execz .LBB2_26
; %bb.25:
	v_cvt_f32_i32_e32 v1, s13
	s_load_b32 s3, s[0:1], 0x28
	s_delay_alu instid0(VALU_DEP_1) | instskip(SKIP_1) | instid1(VALU_DEP_2)
	v_div_scale_f32 v2, null, v1, v1, v12
	v_div_scale_f32 v5, vcc_lo, v12, v1, v12
	v_rcp_f32_e32 v3, v2
	s_waitcnt_depctr 0xfff
	v_fma_f32 v4, -v2, v3, 1.0
	s_delay_alu instid0(VALU_DEP_1) | instskip(NEXT) | instid1(VALU_DEP_1)
	v_fmac_f32_e32 v3, v4, v3
	v_mul_f32_e32 v4, v5, v3
	s_delay_alu instid0(VALU_DEP_1) | instskip(NEXT) | instid1(VALU_DEP_1)
	v_fma_f32 v6, -v2, v4, v5
	v_fmac_f32_e32 v4, v6, v3
	s_delay_alu instid0(VALU_DEP_1) | instskip(NEXT) | instid1(VALU_DEP_1)
	v_fma_f32 v2, -v2, v4, v5
	v_div_fmas_f32 v2, v2, v3, v4
	s_delay_alu instid0(VALU_DEP_1) | instskip(SKIP_1) | instid1(VALU_DEP_1)
	v_div_fixup_f32 v1, v2, v1, v12
	s_waitcnt lgkmcnt(0)
	v_add_f32_e32 v1, s3, v1
	s_delay_alu instid0(VALU_DEP_1) | instskip(SKIP_1) | instid1(VALU_DEP_2)
	v_mul_f32_e32 v2, 0x4b800000, v1
	v_cmp_gt_f32_e32 vcc_lo, 0x800000, v1
	v_cndmask_b32_e32 v1, v1, v2, vcc_lo
	s_delay_alu instid0(VALU_DEP_1) | instskip(SKIP_2) | instid1(VALU_DEP_1)
	v_rsq_f32_e32 v1, v1
	s_waitcnt_depctr 0xfff
	v_mul_f32_e32 v2, 0x45800000, v1
	v_dual_cndmask_b32 v1, v1, v2 :: v_dual_mov_b32 v2, 0
	ds_store_b32 v2, v1 offset:128
.LBB2_26:
	s_or_b32 exec_lo, exec_lo, s2
	s_ashr_i32 s2, s13, 31
	s_waitcnt lgkmcnt(0)
	s_lshr_b32 s2, s2, 30
	s_barrier
	s_add_i32 s2, s13, s2
	buffer_gl0_inv
	s_ashr_i32 s8, s2, 2
	s_mov_b32 s2, exec_lo
	v_cmpx_gt_i32_e64 s8, v0
	s_cbranch_execz .LBB2_93
; %bb.27:
	s_clause 0x1
	s_load_b128 s[4:7], s[0:1], 0x18
	s_load_b64 s[2:3], s[0:1], 0x0
	s_mul_i32 s15, s15, s13
	s_lshl_b32 s9, s12, 4
	v_lshl_add_u32 v16, v0, 2, s15
	s_mov_b32 s13, 0x43e00000
	v_dual_mov_b32 v10, 0 :: v_dual_lshlrev_b32 v9, 4, v0
	ds_load_b32 v15, v10 offset:128
	v_dual_mov_b32 v12, v10 :: v_dual_mov_b32 v11, v9
	s_waitcnt lgkmcnt(0)
	s_load_b32 s7, s[6:7], 0x0
	s_lshl_b32 s6, s12, 2
	s_waitcnt lgkmcnt(0)
	v_div_scale_f32 v1, null, s7, s7, 1.0
	v_div_scale_f32 v4, vcc_lo, 1.0, s7, 1.0
	s_delay_alu instid0(VALU_DEP_2) | instskip(SKIP_2) | instid1(VALU_DEP_1)
	v_rcp_f32_e32 v2, v1
	s_waitcnt_depctr 0xfff
	v_fma_f32 v3, -v1, v2, 1.0
	v_fmac_f32_e32 v2, v3, v2
	s_delay_alu instid0(VALU_DEP_1) | instskip(NEXT) | instid1(VALU_DEP_1)
	v_mul_f32_e32 v3, v4, v2
	v_fma_f32 v5, -v1, v3, v4
	s_delay_alu instid0(VALU_DEP_1) | instskip(NEXT) | instid1(VALU_DEP_1)
	v_fmac_f32_e32 v3, v5, v2
	v_fma_f32 v1, -v1, v3, v4
	s_delay_alu instid0(VALU_DEP_1) | instskip(NEXT) | instid1(VALU_DEP_1)
	v_div_fmas_f32 v1, v1, v2, v3
	v_div_fixup_f32 v17, v1, s7, 1.0
	s_mov_b32 s7, 0
	s_branch .LBB2_29
.LBB2_28:                               ;   in Loop: Header=BB2_29 Depth=1
	s_or_b32 exec_lo, exec_lo, s0
	v_add_nc_u32_e32 v0, s12, v0
	v_add_co_u32 v11, s0, v11, s9
	v_add_nc_u32_e32 v1, 3, v16
	v_add_nc_u32_e32 v16, s6, v16
	s_delay_alu instid0(VALU_DEP_4) | instskip(SKIP_3) | instid1(SALU_CYCLE_1)
	v_cmp_le_i32_e32 vcc_lo, s8, v0
	v_add_co_ci_u32_e64 v12, s0, 0, v12, s0
	global_store_b8 v1, v2, s[2:3]
	s_or_b32 s7, vcc_lo, s7
	s_and_not1_b32 exec_lo, exec_lo, s7
	s_cbranch_execz .LBB2_93
.LBB2_29:                               ; =>This Inner Loop Header: Depth=1
	v_add_co_u32 v1, vcc_lo, s10, v11
	v_add_co_ci_u32_e32 v2, vcc_lo, s11, v12, vcc_lo
	v_add_co_u32 v5, vcc_lo, s4, v11
	v_add_co_ci_u32_e32 v6, vcc_lo, s5, v12, vcc_lo
	global_load_b128 v[1:4], v[1:2], off
	v_mov_b32_e32 v19, v10
	s_mov_b32 s0, exec_lo
	global_load_b128 v[5:8], v[5:6], off
	s_waitcnt vmcnt(1)
	v_mul_f32_e32 v1, v1, v15
	s_waitcnt vmcnt(0)
	s_delay_alu instid0(VALU_DEP_1) | instskip(NEXT) | instid1(VALU_DEP_1)
	v_mul_f32_e32 v1, v1, v5
	v_mul_f32_e32 v1, v17, v1
	s_delay_alu instid0(VALU_DEP_1) | instskip(NEXT) | instid1(VALU_DEP_1)
	v_minmax_f32 v5, v1, s13, 0xc3e00000
	v_and_b32_e32 v18, 0x7f800000, v5
	v_lshrrev_b32_e32 v13, 24, v5
	v_and_b32_e32 v9, 0x7fffff, v5
	s_delay_alu instid0(VALU_DEP_2) | instskip(NEXT) | instid1(VALU_DEP_1)
	v_and_b32_e32 v1, 0x80, v13
	v_or_b32_e32 v14, 0x7e, v1
	v_cmpx_ne_u64_e32 0x7f800000, v[18:19]
	s_xor_b32 s14, exec_lo, s0
	s_cbranch_execz .LBB2_43
; %bb.30:                               ;   in Loop: Header=BB2_29 Depth=1
	v_dual_mov_b32 v19, v10 :: v_dual_and_b32 v18, 0x7fffffff, v5
	s_mov_b32 s0, exec_lo
	s_delay_alu instid0(VALU_DEP_1)
	v_cmpx_gt_u64_e32 0x43e00001, v[18:19]
	s_xor_b32 s15, exec_lo, s0
	s_cbranch_execz .LBB2_42
; %bb.31:                               ;   in Loop: Header=BB2_29 Depth=1
	v_mov_b32_e32 v14, 0
	s_mov_b32 s16, exec_lo
	v_cmpx_ne_u32_e32 0, v5
	s_cbranch_execz .LBB2_41
; %bb.32:                               ;   in Loop: Header=BB2_29 Depth=1
	v_bfe_u32 v5, v5, 23, 8
	s_delay_alu instid0(VALU_DEP_1) | instskip(SKIP_2) | instid1(VALU_DEP_3)
	v_sub_nc_u32_e64 v13, 0x79, v5 clamp
	v_cmp_eq_u32_e32 vcc_lo, 0, v5
	v_add_nc_u32_e32 v5, 0xffffff88, v5
	v_cndmask_b32_e64 v22, v13, 0x78, vcc_lo
	v_or_b32_e32 v13, 0x800000, v9
	s_delay_alu instid0(VALU_DEP_3) | instskip(NEXT) | instid1(VALU_DEP_2)
	v_cndmask_b32_e64 v5, v5, 0xffffff89, vcc_lo
	v_dual_cndmask_b32 v9, v13, v9 :: v_dual_add_nc_u32 v14, 20, v22
	v_add_nc_u32_e32 v18, 19, v22
	s_delay_alu instid0(VALU_DEP_2) | instskip(NEXT) | instid1(VALU_DEP_3)
	v_lshlrev_b64 v[13:14], v14, -1
	v_lshrrev_b64 v[20:21], v22, v[9:10]
	s_delay_alu instid0(VALU_DEP_2) | instskip(NEXT) | instid1(VALU_DEP_3)
	v_not_b32_e32 v19, v14
	v_not_b32_e32 v23, v13
	v_lshlrev_b64 v[13:14], v18, 1
	s_delay_alu instid0(VALU_DEP_3) | instskip(NEXT) | instid1(VALU_DEP_3)
	v_and_b32_e32 v19, 0, v19
	v_and_b32_e32 v18, v9, v23
	;; [unrolled: 1-line block ×3, first 2 shown]
	s_delay_alu instid0(VALU_DEP_2) | instskip(NEXT) | instid1(VALU_DEP_2)
	v_cmp_eq_u64_e64 s0, v[18:19], v[13:14]
	v_cmp_eq_u64_e64 s1, 0, v[9:10]
	v_lshrrev_b32_e32 v9, 23, v20
	s_delay_alu instid0(VALU_DEP_1) | instskip(NEXT) | instid1(VALU_DEP_3)
	v_add3_u32 v18, v5, v22, v9
	s_and_b32 vcc_lo, s1, s0
	s_mov_b32 s0, exec_lo
	v_subrev_co_ci_u32_e32 v13, vcc_lo, 0, v20, vcc_lo
	s_delay_alu instid0(VALU_DEP_2) | instskip(NEXT) | instid1(VALU_DEP_2)
	v_add_nc_u32_e32 v19, -1, v18
	v_and_b32_e32 v5, 0xfffff, v13
	s_delay_alu instid0(VALU_DEP_1) | instskip(SKIP_1) | instid1(VALU_DEP_4)
	v_add_co_u32 v13, vcc_lo, v5, v20
	v_add_co_ci_u32_e32 v14, vcc_lo, 0, v21, vcc_lo
                                        ; implicit-def: $vgpr5
	v_cmpx_ne_u32_e32 0, v19
	s_xor_b32 s0, exec_lo, s0
; %bb.33:                               ;   in Loop: Header=BB2_29 Depth=1
	s_delay_alu instid0(VALU_DEP_3) | instskip(SKIP_1) | instid1(VALU_DEP_2)
	v_and_b32_e32 v9, 0x1000000, v13
	v_bfe_u32 v5, v13, 24, 1
	v_cmp_eq_u64_e32 vcc_lo, 0, v[9:10]
	s_delay_alu instid0(VALU_DEP_2)
	v_lshrrev_b64 v[13:14], v5, v[13:14]
	v_cndmask_b32_e32 v5, v18, v19, vcc_lo
; %bb.34:                               ;   in Loop: Header=BB2_29 Depth=1
	s_and_not1_saveexec_b32 s0, s0
; %bb.35:                               ;   in Loop: Header=BB2_29 Depth=1
	s_delay_alu instid0(VALU_DEP_2)
	v_bfe_u32 v5, v13, 23, 1
; %bb.36:                               ;   in Loop: Header=BB2_29 Depth=1
	s_or_b32 exec_lo, exec_lo, s0
	s_delay_alu instid0(VALU_DEP_3) | instskip(NEXT) | instid1(VALU_DEP_2)
	v_lshrrev_b64 v[13:14], 20, v[13:14]
	v_cmp_gt_i32_e32 vcc_lo, 16, v5
	v_cmp_ne_u32_e64 s0, 0, v5
	s_delay_alu instid0(VALU_DEP_3) | instskip(NEXT) | instid1(VALU_DEP_1)
	v_dual_cndmask_b32 v14, 0, v14 :: v_dual_cndmask_b32 v13, 7, v13
	v_cmp_ne_u64_e32 vcc_lo, 0, v[13:14]
                                        ; implicit-def: $vgpr14
	s_delay_alu instid0(VALU_DEP_3) | instskip(NEXT) | instid1(SALU_CYCLE_1)
	s_or_b32 s0, s0, vcc_lo
	s_and_saveexec_b32 s1, s0
	s_delay_alu instid0(SALU_CYCLE_1)
	s_xor_b32 s0, exec_lo, s1
; %bb.37:                               ;   in Loop: Header=BB2_29 Depth=1
	v_min_i32_e32 v5, 15, v5
	s_delay_alu instid0(VALU_DEP_1) | instskip(NEXT) | instid1(VALU_DEP_1)
	v_lshl_or_b32 v1, v5, 3, v1
	v_and_or_b32 v14, v13, 7, v1
                                        ; implicit-def: $vgpr1
; %bb.38:                               ;   in Loop: Header=BB2_29 Depth=1
	s_and_not1_saveexec_b32 s0, s0
; %bb.39:                               ;   in Loop: Header=BB2_29 Depth=1
	v_mov_b32_e32 v14, v1
; %bb.40:                               ;   in Loop: Header=BB2_29 Depth=1
	s_or_b32 exec_lo, exec_lo, s0
.LBB2_41:                               ;   in Loop: Header=BB2_29 Depth=1
	s_delay_alu instid0(SALU_CYCLE_1)
	s_or_b32 exec_lo, exec_lo, s16
.LBB2_42:                               ;   in Loop: Header=BB2_29 Depth=1
	s_and_not1_saveexec_b32 s0, s15
	s_delay_alu instid0(SALU_CYCLE_1)
	s_or_b32 exec_lo, exec_lo, s0
                                        ; implicit-def: $vgpr13
.LBB2_43:                               ;   in Loop: Header=BB2_29 Depth=1
	s_and_not1_saveexec_b32 s0, s14
; %bb.44:                               ;   in Loop: Header=BB2_29 Depth=1
	v_cmp_eq_u64_e32 vcc_lo, 0, v[9:10]
	v_or_b32_e32 v1, 0x7f, v13
	s_delay_alu instid0(VALU_DEP_1)
	v_cndmask_b32_e32 v14, v1, v14, vcc_lo
; %bb.45:                               ;   in Loop: Header=BB2_29 Depth=1
	s_or_b32 exec_lo, exec_lo, s0
	v_mul_f32_e32 v1, v2, v15
	global_store_b8 v16, v14, s[2:3]
	s_mov_b32 s0, exec_lo
	v_mov_b32_e32 v19, v10
	v_mul_f32_e32 v1, v1, v6
	s_delay_alu instid0(VALU_DEP_1) | instskip(NEXT) | instid1(VALU_DEP_1)
	v_mul_f32_e32 v1, v17, v1
	v_minmax_f32 v1, v1, s13, 0xc3e00000
	s_delay_alu instid0(VALU_DEP_1) | instskip(SKIP_2) | instid1(VALU_DEP_3)
	v_lshrrev_b32_e32 v6, 24, v1
	v_and_b32_e32 v18, 0x7f800000, v1
	v_and_b32_e32 v9, 0x7fffff, v1
	;; [unrolled: 1-line block ×3, first 2 shown]
	s_delay_alu instid0(VALU_DEP_1) | instskip(NEXT) | instid1(VALU_DEP_4)
	v_or_b32_e32 v2, 0x7e, v5
	v_cmpx_ne_u64_e32 0x7f800000, v[18:19]
	s_xor_b32 s14, exec_lo, s0
	s_cbranch_execz .LBB2_59
; %bb.46:                               ;   in Loop: Header=BB2_29 Depth=1
	v_dual_mov_b32 v14, v10 :: v_dual_and_b32 v13, 0x7fffffff, v1
	s_mov_b32 s0, exec_lo
	s_delay_alu instid0(VALU_DEP_1)
	v_cmpx_gt_u64_e32 0x43e00001, v[13:14]
	s_xor_b32 s15, exec_lo, s0
	s_cbranch_execz .LBB2_58
; %bb.47:                               ;   in Loop: Header=BB2_29 Depth=1
	v_mov_b32_e32 v2, 0
	s_mov_b32 s16, exec_lo
	v_cmpx_ne_u32_e32 0, v1
	s_cbranch_execz .LBB2_57
; %bb.48:                               ;   in Loop: Header=BB2_29 Depth=1
	v_bfe_u32 v6, v1, 23, 8
	s_delay_alu instid0(VALU_DEP_1) | instskip(SKIP_2) | instid1(VALU_DEP_3)
	v_sub_nc_u32_e64 v1, 0x79, v6 clamp
	v_cmp_eq_u32_e32 vcc_lo, 0, v6
	v_add_nc_u32_e32 v6, 0xffffff88, v6
	v_cndmask_b32_e64 v20, v1, 0x78, vcc_lo
	v_or_b32_e32 v1, 0x800000, v9
	s_delay_alu instid0(VALU_DEP_1) | instskip(SKIP_1) | instid1(VALU_DEP_2)
	v_dual_cndmask_b32 v9, v1, v9 :: v_dual_add_nc_u32 v2, 20, v20
	v_add_nc_u32_e32 v13, 19, v20
	v_lshlrev_b64 v[1:2], v2, -1
	s_delay_alu instid0(VALU_DEP_3) | instskip(NEXT) | instid1(VALU_DEP_2)
	v_lshrrev_b64 v[18:19], v20, v[9:10]
	v_not_b32_e32 v14, v2
	s_delay_alu instid0(VALU_DEP_3) | instskip(SKIP_1) | instid1(VALU_DEP_3)
	v_not_b32_e32 v21, v1
	v_lshlrev_b64 v[1:2], v13, 1
	v_and_b32_e32 v14, 0, v14
	s_delay_alu instid0(VALU_DEP_3) | instskip(SKIP_1) | instid1(VALU_DEP_2)
	v_and_b32_e32 v13, v9, v21
	v_and_b32_e32 v9, 0x100000, v18
	v_cmp_eq_u64_e64 s0, v[13:14], v[1:2]
	s_delay_alu instid0(VALU_DEP_2) | instskip(SKIP_2) | instid1(VALU_DEP_3)
	v_cmp_eq_u64_e64 s1, 0, v[9:10]
	v_cndmask_b32_e64 v1, v6, 0xffffff89, vcc_lo
	v_lshrrev_b32_e32 v2, 23, v18
	s_and_b32 vcc_lo, s1, s0
	s_delay_alu instid0(VALU_DEP_1) | instskip(SKIP_2) | instid1(VALU_DEP_2)
	v_add3_u32 v13, v1, v20, v2
	v_subrev_co_ci_u32_e32 v6, vcc_lo, 0, v18, vcc_lo
	s_mov_b32 s0, exec_lo
	v_add_nc_u32_e32 v14, -1, v13
	s_delay_alu instid0(VALU_DEP_2) | instskip(NEXT) | instid1(VALU_DEP_1)
	v_and_b32_e32 v1, 0xfffff, v6
                                        ; implicit-def: $vgpr6
	v_add_co_u32 v1, vcc_lo, v1, v18
	v_add_co_ci_u32_e32 v2, vcc_lo, 0, v19, vcc_lo
	s_delay_alu instid0(VALU_DEP_4)
	v_cmpx_ne_u32_e32 0, v14
	s_xor_b32 s0, exec_lo, s0
; %bb.49:                               ;   in Loop: Header=BB2_29 Depth=1
	s_delay_alu instid0(VALU_DEP_3) | instskip(SKIP_1) | instid1(VALU_DEP_2)
	v_and_b32_e32 v9, 0x1000000, v1
	v_bfe_u32 v6, v1, 24, 1
	v_cmp_eq_u64_e32 vcc_lo, 0, v[9:10]
	s_delay_alu instid0(VALU_DEP_2)
	v_lshrrev_b64 v[1:2], v6, v[1:2]
	v_cndmask_b32_e32 v6, v13, v14, vcc_lo
; %bb.50:                               ;   in Loop: Header=BB2_29 Depth=1
	s_and_not1_saveexec_b32 s0, s0
; %bb.51:                               ;   in Loop: Header=BB2_29 Depth=1
	s_delay_alu instid0(VALU_DEP_2)
	v_bfe_u32 v6, v1, 23, 1
; %bb.52:                               ;   in Loop: Header=BB2_29 Depth=1
	s_or_b32 exec_lo, exec_lo, s0
	s_delay_alu instid0(VALU_DEP_3) | instskip(NEXT) | instid1(VALU_DEP_2)
	v_lshrrev_b64 v[1:2], 20, v[1:2]
	v_cmp_gt_i32_e32 vcc_lo, 16, v6
	v_cmp_ne_u32_e64 s0, 0, v6
	s_delay_alu instid0(VALU_DEP_3) | instskip(NEXT) | instid1(VALU_DEP_1)
	v_dual_cndmask_b32 v2, 0, v2 :: v_dual_cndmask_b32 v1, 7, v1
	v_cmp_ne_u64_e32 vcc_lo, 0, v[1:2]
                                        ; implicit-def: $vgpr2
	s_delay_alu instid0(VALU_DEP_3) | instskip(NEXT) | instid1(SALU_CYCLE_1)
	s_or_b32 s0, s0, vcc_lo
	s_and_saveexec_b32 s1, s0
	s_delay_alu instid0(SALU_CYCLE_1)
	s_xor_b32 s0, exec_lo, s1
; %bb.53:                               ;   in Loop: Header=BB2_29 Depth=1
	v_min_i32_e32 v2, 15, v6
	s_delay_alu instid0(VALU_DEP_1) | instskip(NEXT) | instid1(VALU_DEP_1)
	v_lshl_or_b32 v2, v2, 3, v5
                                        ; implicit-def: $vgpr5
	v_and_or_b32 v2, v1, 7, v2
; %bb.54:                               ;   in Loop: Header=BB2_29 Depth=1
	s_and_not1_saveexec_b32 s0, s0
; %bb.55:                               ;   in Loop: Header=BB2_29 Depth=1
	v_mov_b32_e32 v2, v5
; %bb.56:                               ;   in Loop: Header=BB2_29 Depth=1
	s_or_b32 exec_lo, exec_lo, s0
.LBB2_57:                               ;   in Loop: Header=BB2_29 Depth=1
	s_delay_alu instid0(SALU_CYCLE_1)
	s_or_b32 exec_lo, exec_lo, s16
.LBB2_58:                               ;   in Loop: Header=BB2_29 Depth=1
	s_and_not1_saveexec_b32 s0, s15
	s_delay_alu instid0(SALU_CYCLE_1)
	s_or_b32 exec_lo, exec_lo, s0
                                        ; implicit-def: $vgpr6
.LBB2_59:                               ;   in Loop: Header=BB2_29 Depth=1
	s_and_not1_saveexec_b32 s0, s14
; %bb.60:                               ;   in Loop: Header=BB2_29 Depth=1
	v_cmp_eq_u64_e32 vcc_lo, 0, v[9:10]
	v_or_b32_e32 v1, 0x7f, v6
	s_delay_alu instid0(VALU_DEP_1)
	v_cndmask_b32_e32 v2, v1, v2, vcc_lo
; %bb.61:                               ;   in Loop: Header=BB2_29 Depth=1
	s_or_b32 exec_lo, exec_lo, s0
	v_dual_mul_f32 v1, v3, v15 :: v_dual_mov_b32 v14, v10
	s_mov_b32 s0, exec_lo
	s_delay_alu instid0(VALU_DEP_1) | instskip(SKIP_1) | instid1(VALU_DEP_2)
	v_mul_f32_e32 v1, v1, v7
	v_add_nc_u32_e32 v7, 1, v16
	v_mul_f32_e32 v1, v17, v1
	global_store_b8 v7, v2, s[2:3]
	v_minmax_f32 v1, v1, s13, 0xc3e00000
	s_delay_alu instid0(VALU_DEP_1) | instskip(SKIP_2) | instid1(VALU_DEP_3)
	v_lshrrev_b32_e32 v6, 24, v1
	v_and_b32_e32 v13, 0x7f800000, v1
	v_and_b32_e32 v9, 0x7fffff, v1
	;; [unrolled: 1-line block ×3, first 2 shown]
	s_delay_alu instid0(VALU_DEP_1) | instskip(NEXT) | instid1(VALU_DEP_4)
	v_or_b32_e32 v5, 0x7e, v3
	v_cmpx_ne_u64_e32 0x7f800000, v[13:14]
	s_xor_b32 s14, exec_lo, s0
	s_cbranch_execz .LBB2_75
; %bb.62:                               ;   in Loop: Header=BB2_29 Depth=1
	v_dual_mov_b32 v7, v10 :: v_dual_and_b32 v6, 0x7fffffff, v1
	s_mov_b32 s0, exec_lo
	s_delay_alu instid0(VALU_DEP_1)
	v_cmpx_gt_u64_e32 0x43e00001, v[6:7]
	s_xor_b32 s15, exec_lo, s0
	s_cbranch_execz .LBB2_74
; %bb.63:                               ;   in Loop: Header=BB2_29 Depth=1
	v_mov_b32_e32 v5, 0
	s_mov_b32 s16, exec_lo
	v_cmpx_ne_u32_e32 0, v1
	s_cbranch_execz .LBB2_73
; %bb.64:                               ;   in Loop: Header=BB2_29 Depth=1
	v_bfe_u32 v7, v1, 23, 8
	s_delay_alu instid0(VALU_DEP_1) | instskip(SKIP_2) | instid1(VALU_DEP_3)
	v_sub_nc_u32_e64 v1, 0x79, v7 clamp
	v_cmp_eq_u32_e32 vcc_lo, 0, v7
	v_add_nc_u32_e32 v7, 0xffffff88, v7
	v_cndmask_b32_e64 v18, v1, 0x78, vcc_lo
	v_or_b32_e32 v1, 0x800000, v9
	s_delay_alu instid0(VALU_DEP_1) | instskip(SKIP_1) | instid1(VALU_DEP_2)
	v_dual_cndmask_b32 v9, v1, v9 :: v_dual_add_nc_u32 v2, 20, v18
	v_add_nc_u32_e32 v5, 19, v18
	v_lshlrev_b64 v[1:2], v2, -1
	s_delay_alu instid0(VALU_DEP_3) | instskip(NEXT) | instid1(VALU_DEP_2)
	v_lshrrev_b64 v[13:14], v18, v[9:10]
	v_not_b32_e32 v6, v2
	s_delay_alu instid0(VALU_DEP_3) | instskip(SKIP_1) | instid1(VALU_DEP_3)
	v_not_b32_e32 v19, v1
	v_lshlrev_b64 v[1:2], v5, 1
	v_and_b32_e32 v6, 0, v6
	s_delay_alu instid0(VALU_DEP_3) | instskip(SKIP_1) | instid1(VALU_DEP_2)
	v_and_b32_e32 v5, v9, v19
	v_and_b32_e32 v9, 0x100000, v13
	v_cmp_eq_u64_e64 s0, v[5:6], v[1:2]
	s_delay_alu instid0(VALU_DEP_2) | instskip(SKIP_2) | instid1(VALU_DEP_3)
	v_cmp_eq_u64_e64 s1, 0, v[9:10]
	v_cndmask_b32_e64 v1, v7, 0xffffff89, vcc_lo
	v_lshrrev_b32_e32 v2, 23, v13
	s_and_b32 vcc_lo, s1, s0
	s_delay_alu instid0(VALU_DEP_1) | instskip(SKIP_2) | instid1(VALU_DEP_2)
	v_add3_u32 v5, v1, v18, v2
	v_subrev_co_ci_u32_e32 v6, vcc_lo, 0, v13, vcc_lo
	s_mov_b32 s0, exec_lo
	v_add_nc_u32_e32 v7, -1, v5
	s_delay_alu instid0(VALU_DEP_2) | instskip(NEXT) | instid1(VALU_DEP_1)
	v_and_b32_e32 v1, 0xfffff, v6
                                        ; implicit-def: $vgpr6
	v_add_co_u32 v1, vcc_lo, v1, v13
	v_add_co_ci_u32_e32 v2, vcc_lo, 0, v14, vcc_lo
	s_delay_alu instid0(VALU_DEP_4)
	v_cmpx_ne_u32_e32 0, v7
	s_xor_b32 s0, exec_lo, s0
; %bb.65:                               ;   in Loop: Header=BB2_29 Depth=1
	s_delay_alu instid0(VALU_DEP_3) | instskip(SKIP_1) | instid1(VALU_DEP_2)
	v_and_b32_e32 v9, 0x1000000, v1
	v_bfe_u32 v6, v1, 24, 1
	v_cmp_eq_u64_e32 vcc_lo, 0, v[9:10]
	s_delay_alu instid0(VALU_DEP_2)
	v_lshrrev_b64 v[1:2], v6, v[1:2]
	v_cndmask_b32_e32 v6, v5, v7, vcc_lo
; %bb.66:                               ;   in Loop: Header=BB2_29 Depth=1
	s_and_not1_saveexec_b32 s0, s0
; %bb.67:                               ;   in Loop: Header=BB2_29 Depth=1
	s_delay_alu instid0(VALU_DEP_2)
	v_bfe_u32 v6, v1, 23, 1
; %bb.68:                               ;   in Loop: Header=BB2_29 Depth=1
	s_or_b32 exec_lo, exec_lo, s0
	s_delay_alu instid0(VALU_DEP_3) | instskip(NEXT) | instid1(VALU_DEP_2)
	v_lshrrev_b64 v[1:2], 20, v[1:2]
	v_cmp_gt_i32_e32 vcc_lo, 16, v6
	v_cmp_ne_u32_e64 s0, 0, v6
                                        ; implicit-def: $vgpr5
	s_delay_alu instid0(VALU_DEP_3) | instskip(NEXT) | instid1(VALU_DEP_1)
	v_dual_cndmask_b32 v2, 0, v2 :: v_dual_cndmask_b32 v1, 7, v1
	v_cmp_ne_u64_e32 vcc_lo, 0, v[1:2]
	s_delay_alu instid0(VALU_DEP_3) | instskip(NEXT) | instid1(SALU_CYCLE_1)
	s_or_b32 s0, s0, vcc_lo
	s_and_saveexec_b32 s1, s0
	s_delay_alu instid0(SALU_CYCLE_1)
	s_xor_b32 s0, exec_lo, s1
; %bb.69:                               ;   in Loop: Header=BB2_29 Depth=1
	v_min_i32_e32 v2, 15, v6
	s_delay_alu instid0(VALU_DEP_1) | instskip(NEXT) | instid1(VALU_DEP_1)
	v_lshl_or_b32 v2, v2, 3, v3
                                        ; implicit-def: $vgpr3
	v_and_or_b32 v5, v1, 7, v2
; %bb.70:                               ;   in Loop: Header=BB2_29 Depth=1
	s_and_not1_saveexec_b32 s0, s0
; %bb.71:                               ;   in Loop: Header=BB2_29 Depth=1
	v_mov_b32_e32 v5, v3
; %bb.72:                               ;   in Loop: Header=BB2_29 Depth=1
	s_or_b32 exec_lo, exec_lo, s0
.LBB2_73:                               ;   in Loop: Header=BB2_29 Depth=1
	s_delay_alu instid0(SALU_CYCLE_1)
	s_or_b32 exec_lo, exec_lo, s16
.LBB2_74:                               ;   in Loop: Header=BB2_29 Depth=1
	s_and_not1_saveexec_b32 s0, s15
	s_delay_alu instid0(SALU_CYCLE_1)
	s_or_b32 exec_lo, exec_lo, s0
                                        ; implicit-def: $vgpr6
.LBB2_75:                               ;   in Loop: Header=BB2_29 Depth=1
	s_and_not1_saveexec_b32 s0, s14
; %bb.76:                               ;   in Loop: Header=BB2_29 Depth=1
	v_cmp_eq_u64_e32 vcc_lo, 0, v[9:10]
	v_or_b32_e32 v1, 0x7f, v6
	s_delay_alu instid0(VALU_DEP_1)
	v_cndmask_b32_e32 v5, v1, v5, vcc_lo
; %bb.77:                               ;   in Loop: Header=BB2_29 Depth=1
	s_or_b32 exec_lo, exec_lo, s0
	v_mul_f32_e32 v1, v4, v15
	s_mov_b32 s0, exec_lo
	v_mov_b32_e32 v7, v10
	s_delay_alu instid0(VALU_DEP_2) | instskip(NEXT) | instid1(VALU_DEP_1)
	v_mul_f32_e32 v1, v1, v8
	v_dual_mul_f32 v1, v17, v1 :: v_dual_add_nc_u32 v8, 2, v16
	global_store_b8 v8, v5, s[2:3]
	v_minmax_f32 v1, v1, s13, 0xc3e00000
	s_delay_alu instid0(VALU_DEP_1) | instskip(SKIP_2) | instid1(VALU_DEP_3)
	v_lshrrev_b32_e32 v4, 24, v1
	v_and_b32_e32 v6, 0x7f800000, v1
	v_and_b32_e32 v9, 0x7fffff, v1
	v_and_b32_e32 v3, 0x80, v4
	s_delay_alu instid0(VALU_DEP_1) | instskip(NEXT) | instid1(VALU_DEP_4)
	v_or_b32_e32 v2, 0x7e, v3
	v_cmpx_ne_u64_e32 0x7f800000, v[6:7]
	s_xor_b32 s14, exec_lo, s0
	s_cbranch_execz .LBB2_91
; %bb.78:                               ;   in Loop: Header=BB2_29 Depth=1
	v_dual_mov_b32 v5, v10 :: v_dual_and_b32 v4, 0x7fffffff, v1
	s_mov_b32 s0, exec_lo
	s_delay_alu instid0(VALU_DEP_1)
	v_cmpx_gt_u64_e32 0x43e00001, v[4:5]
	s_xor_b32 s15, exec_lo, s0
	s_cbranch_execz .LBB2_90
; %bb.79:                               ;   in Loop: Header=BB2_29 Depth=1
	v_mov_b32_e32 v2, 0
	s_mov_b32 s16, exec_lo
	v_cmpx_ne_u32_e32 0, v1
	s_cbranch_execz .LBB2_89
; %bb.80:                               ;   in Loop: Header=BB2_29 Depth=1
	v_bfe_u32 v6, v1, 23, 8
	s_delay_alu instid0(VALU_DEP_1) | instskip(SKIP_2) | instid1(VALU_DEP_3)
	v_sub_nc_u32_e64 v1, 0x79, v6 clamp
	v_cmp_eq_u32_e32 vcc_lo, 0, v6
	v_add_nc_u32_e32 v6, 0xffffff88, v6
	v_cndmask_b32_e64 v13, v1, 0x78, vcc_lo
	v_or_b32_e32 v1, 0x800000, v9
	s_delay_alu instid0(VALU_DEP_2) | instskip(NEXT) | instid1(VALU_DEP_2)
	v_add_nc_u32_e32 v2, 20, v13
	v_cndmask_b32_e32 v9, v1, v9, vcc_lo
	v_add_nc_u32_e32 v4, 19, v13
	s_delay_alu instid0(VALU_DEP_3) | instskip(NEXT) | instid1(VALU_DEP_3)
	v_lshlrev_b64 v[1:2], v2, -1
	v_lshrrev_b64 v[7:8], v13, v[9:10]
	s_delay_alu instid0(VALU_DEP_2) | instskip(NEXT) | instid1(VALU_DEP_3)
	v_not_b32_e32 v5, v2
	v_not_b32_e32 v14, v1
	v_lshlrev_b64 v[1:2], v4, 1
	s_delay_alu instid0(VALU_DEP_3) | instskip(NEXT) | instid1(VALU_DEP_3)
	v_and_b32_e32 v5, 0, v5
	v_and_b32_e32 v4, v9, v14
	;; [unrolled: 1-line block ×3, first 2 shown]
	s_delay_alu instid0(VALU_DEP_2) | instskip(NEXT) | instid1(VALU_DEP_2)
	v_cmp_eq_u64_e64 s0, v[4:5], v[1:2]
	v_cmp_eq_u64_e64 s1, 0, v[9:10]
	v_cndmask_b32_e64 v1, v6, 0xffffff89, vcc_lo
	v_lshrrev_b32_e32 v2, 23, v7
	s_delay_alu instid0(VALU_DEP_3) | instskip(NEXT) | instid1(VALU_DEP_1)
	s_and_b32 vcc_lo, s1, s0
	v_add3_u32 v5, v1, v13, v2
	v_subrev_co_ci_u32_e32 v4, vcc_lo, 0, v7, vcc_lo
	s_mov_b32 s0, exec_lo
	s_delay_alu instid0(VALU_DEP_2) | instskip(NEXT) | instid1(VALU_DEP_2)
	v_add_nc_u32_e32 v6, -1, v5
	v_and_b32_e32 v1, 0xfffff, v4
                                        ; implicit-def: $vgpr4
	s_delay_alu instid0(VALU_DEP_1) | instskip(SKIP_1) | instid1(VALU_DEP_4)
	v_add_co_u32 v1, vcc_lo, v1, v7
	v_add_co_ci_u32_e32 v2, vcc_lo, 0, v8, vcc_lo
	v_cmpx_ne_u32_e32 0, v6
	s_xor_b32 s0, exec_lo, s0
; %bb.81:                               ;   in Loop: Header=BB2_29 Depth=1
	s_delay_alu instid0(VALU_DEP_3) | instskip(SKIP_1) | instid1(VALU_DEP_2)
	v_and_b32_e32 v9, 0x1000000, v1
	v_bfe_u32 v4, v1, 24, 1
	v_cmp_eq_u64_e32 vcc_lo, 0, v[9:10]
	s_delay_alu instid0(VALU_DEP_2)
	v_lshrrev_b64 v[1:2], v4, v[1:2]
	v_cndmask_b32_e32 v4, v5, v6, vcc_lo
; %bb.82:                               ;   in Loop: Header=BB2_29 Depth=1
	s_and_not1_saveexec_b32 s0, s0
; %bb.83:                               ;   in Loop: Header=BB2_29 Depth=1
	s_delay_alu instid0(VALU_DEP_2)
	v_bfe_u32 v4, v1, 23, 1
; %bb.84:                               ;   in Loop: Header=BB2_29 Depth=1
	s_or_b32 exec_lo, exec_lo, s0
	s_delay_alu instid0(VALU_DEP_3) | instskip(NEXT) | instid1(VALU_DEP_2)
	v_lshrrev_b64 v[1:2], 20, v[1:2]
	v_cmp_gt_i32_e32 vcc_lo, 16, v4
	v_cmp_ne_u32_e64 s0, 0, v4
	s_delay_alu instid0(VALU_DEP_3) | instskip(NEXT) | instid1(VALU_DEP_1)
	v_dual_cndmask_b32 v2, 0, v2 :: v_dual_cndmask_b32 v1, 7, v1
	v_cmp_ne_u64_e32 vcc_lo, 0, v[1:2]
                                        ; implicit-def: $vgpr2
	s_delay_alu instid0(VALU_DEP_3) | instskip(NEXT) | instid1(SALU_CYCLE_1)
	s_or_b32 s0, s0, vcc_lo
	s_and_saveexec_b32 s1, s0
	s_delay_alu instid0(SALU_CYCLE_1)
	s_xor_b32 s0, exec_lo, s1
; %bb.85:                               ;   in Loop: Header=BB2_29 Depth=1
	v_min_i32_e32 v2, 15, v4
	s_delay_alu instid0(VALU_DEP_1) | instskip(NEXT) | instid1(VALU_DEP_1)
	v_lshl_or_b32 v2, v2, 3, v3
                                        ; implicit-def: $vgpr3
	v_and_or_b32 v2, v1, 7, v2
; %bb.86:                               ;   in Loop: Header=BB2_29 Depth=1
	s_and_not1_saveexec_b32 s0, s0
; %bb.87:                               ;   in Loop: Header=BB2_29 Depth=1
	v_mov_b32_e32 v2, v3
; %bb.88:                               ;   in Loop: Header=BB2_29 Depth=1
	s_or_b32 exec_lo, exec_lo, s0
.LBB2_89:                               ;   in Loop: Header=BB2_29 Depth=1
	s_delay_alu instid0(SALU_CYCLE_1)
	s_or_b32 exec_lo, exec_lo, s16
.LBB2_90:                               ;   in Loop: Header=BB2_29 Depth=1
	s_and_not1_saveexec_b32 s0, s15
	s_delay_alu instid0(SALU_CYCLE_1)
	s_or_b32 exec_lo, exec_lo, s0
                                        ; implicit-def: $vgpr4
.LBB2_91:                               ;   in Loop: Header=BB2_29 Depth=1
	s_and_not1_saveexec_b32 s0, s14
	s_cbranch_execz .LBB2_28
; %bb.92:                               ;   in Loop: Header=BB2_29 Depth=1
	v_cmp_eq_u64_e32 vcc_lo, 0, v[9:10]
	v_or_b32_e32 v1, 0x7f, v4
	s_delay_alu instid0(VALU_DEP_1)
	v_cndmask_b32_e32 v2, v1, v2, vcc_lo
	s_branch .LBB2_28
.LBB2_93:
	s_nop 0
	s_sendmsg sendmsg(MSG_DEALLOC_VGPRS)
	s_endpgm
	.section	.rodata,"a",@progbits
	.p2align	6, 0x0
	.amdhsa_kernel _ZN4vllm32rms_norm_static_fp8_quant_kernelIfN3c1013Float8_e4m3fnELi4EEEvPT0_PKT_iS7_PKffii
		.amdhsa_group_segment_fixed_size 132
		.amdhsa_private_segment_fixed_size 0
		.amdhsa_kernarg_size 312
		.amdhsa_user_sgpr_count 15
		.amdhsa_user_sgpr_dispatch_ptr 0
		.amdhsa_user_sgpr_queue_ptr 0
		.amdhsa_user_sgpr_kernarg_segment_ptr 1
		.amdhsa_user_sgpr_dispatch_id 0
		.amdhsa_user_sgpr_private_segment_size 0
		.amdhsa_wavefront_size32 1
		.amdhsa_uses_dynamic_stack 0
		.amdhsa_enable_private_segment 0
		.amdhsa_system_sgpr_workgroup_id_x 1
		.amdhsa_system_sgpr_workgroup_id_y 0
		.amdhsa_system_sgpr_workgroup_id_z 0
		.amdhsa_system_sgpr_workgroup_info 0
		.amdhsa_system_vgpr_workitem_id 0
		.amdhsa_next_free_vgpr 24
		.amdhsa_next_free_sgpr 20
		.amdhsa_reserve_vcc 1
		.amdhsa_float_round_mode_32 0
		.amdhsa_float_round_mode_16_64 0
		.amdhsa_float_denorm_mode_32 3
		.amdhsa_float_denorm_mode_16_64 3
		.amdhsa_dx10_clamp 1
		.amdhsa_ieee_mode 1
		.amdhsa_fp16_overflow 0
		.amdhsa_workgroup_processor_mode 1
		.amdhsa_memory_ordered 1
		.amdhsa_forward_progress 0
		.amdhsa_shared_vgpr_count 0
		.amdhsa_exception_fp_ieee_invalid_op 0
		.amdhsa_exception_fp_denorm_src 0
		.amdhsa_exception_fp_ieee_div_zero 0
		.amdhsa_exception_fp_ieee_overflow 0
		.amdhsa_exception_fp_ieee_underflow 0
		.amdhsa_exception_fp_ieee_inexact 0
		.amdhsa_exception_int_div_zero 0
	.end_amdhsa_kernel
	.section	.text._ZN4vllm32rms_norm_static_fp8_quant_kernelIfN3c1013Float8_e4m3fnELi4EEEvPT0_PKT_iS7_PKffii,"axG",@progbits,_ZN4vllm32rms_norm_static_fp8_quant_kernelIfN3c1013Float8_e4m3fnELi4EEEvPT0_PKT_iS7_PKffii,comdat
.Lfunc_end2:
	.size	_ZN4vllm32rms_norm_static_fp8_quant_kernelIfN3c1013Float8_e4m3fnELi4EEEvPT0_PKT_iS7_PKffii, .Lfunc_end2-_ZN4vllm32rms_norm_static_fp8_quant_kernelIfN3c1013Float8_e4m3fnELi4EEEvPT0_PKT_iS7_PKffii
                                        ; -- End function
	.section	.AMDGPU.csdata,"",@progbits
; Kernel info:
; codeLenInByte = 4280
; NumSgprs: 22
; NumVgprs: 24
; ScratchSize: 0
; MemoryBound: 0
; FloatMode: 240
; IeeeMode: 1
; LDSByteSize: 132 bytes/workgroup (compile time only)
; SGPRBlocks: 2
; VGPRBlocks: 2
; NumSGPRsForWavesPerEU: 22
; NumVGPRsForWavesPerEU: 24
; Occupancy: 16
; WaveLimiterHint : 0
; COMPUTE_PGM_RSRC2:SCRATCH_EN: 0
; COMPUTE_PGM_RSRC2:USER_SGPR: 15
; COMPUTE_PGM_RSRC2:TRAP_HANDLER: 0
; COMPUTE_PGM_RSRC2:TGID_X_EN: 1
; COMPUTE_PGM_RSRC2:TGID_Y_EN: 0
; COMPUTE_PGM_RSRC2:TGID_Z_EN: 0
; COMPUTE_PGM_RSRC2:TIDIG_COMP_CNT: 0
	.section	.text._ZN4vllm32rms_norm_static_fp8_quant_kernelIfN3c1013Float8_e4m3fnELi2EEEvPT0_PKT_iS7_PKffii,"axG",@progbits,_ZN4vllm32rms_norm_static_fp8_quant_kernelIfN3c1013Float8_e4m3fnELi2EEEvPT0_PKT_iS7_PKffii,comdat
	.protected	_ZN4vllm32rms_norm_static_fp8_quant_kernelIfN3c1013Float8_e4m3fnELi2EEEvPT0_PKT_iS7_PKffii ; -- Begin function _ZN4vllm32rms_norm_static_fp8_quant_kernelIfN3c1013Float8_e4m3fnELi2EEEvPT0_PKT_iS7_PKffii
	.globl	_ZN4vllm32rms_norm_static_fp8_quant_kernelIfN3c1013Float8_e4m3fnELi2EEEvPT0_PKT_iS7_PKffii
	.p2align	8
	.type	_ZN4vllm32rms_norm_static_fp8_quant_kernelIfN3c1013Float8_e4m3fnELi2EEEvPT0_PKT_iS7_PKffii,@function
_ZN4vllm32rms_norm_static_fp8_quant_kernelIfN3c1013Float8_e4m3fnELi2EEEvPT0_PKT_iS7_PKffii: ; @_ZN4vllm32rms_norm_static_fp8_quant_kernelIfN3c1013Float8_e4m3fnELi2EEEvPT0_PKT_iS7_PKffii
; %bb.0:
	s_clause 0x3
	s_load_b32 s2, s[0:1], 0x10
	s_load_b64 s[4:5], s[0:1], 0x8
	s_load_b32 s10, s[0:1], 0x44
	s_load_b32 s13, s[0:1], 0x30
	s_mov_b32 s3, 0
	s_waitcnt lgkmcnt(0)
	s_mul_i32 s2, s15, s2
	s_delay_alu instid0(SALU_CYCLE_1) | instskip(NEXT) | instid1(SALU_CYCLE_1)
	s_lshl_b64 s[6:7], s[2:3], 2
	s_add_u32 s8, s4, s6
	s_addc_u32 s9, s5, s7
	s_and_b32 s2, s8, 7
	s_and_b32 s12, s10, 0xffff
	s_cmp_lg_u64 s[2:3], 0
	s_cselect_b32 s2, -1, 0
	s_bitcmp1_b32 s13, 0
	s_cselect_b32 s3, -1, 0
	s_delay_alu instid0(SALU_CYCLE_1) | instskip(NEXT) | instid1(SALU_CYCLE_1)
	s_or_b32 s2, s2, s3
	s_and_b32 vcc_lo, exec_lo, s2
	s_cbranch_vccz .LBB3_13
; %bb.1:
	s_sub_i32 s2, 0, s8
	v_mov_b32_e32 v4, 0
	s_bfe_u32 s2, s2, 0x10002
	s_mov_b32 s11, exec_lo
	s_min_i32 s10, s2, s13
	s_delay_alu instid0(SALU_CYCLE_1)
	v_cmpx_gt_i32_e64 s10, v0
	s_cbranch_execz .LBB3_4
; %bb.2:
	v_mov_b32_e32 v4, 0
	s_lshl_b32 s14, s12, 2
	s_mov_b32 s16, 0
	s_mov_b64 s[2:3], s[8:9]
.LBB3_3:                                ; =>This Inner Loop Header: Depth=1
	s_load_b32 s17, s[2:3], 0x0
	s_add_i32 s16, s16, s12
	s_add_u32 s2, s2, s14
	s_addc_u32 s3, s3, 0
	s_cmp_ge_i32 s16, s10
	s_waitcnt lgkmcnt(0)
	v_fmac_f32_e64 v4, s17, s17
	s_cbranch_scc0 .LBB3_3
.LBB3_4:
	s_or_b32 exec_lo, exec_lo, s11
	s_sub_i32 s3, s13, s10
	s_ashr_i32 s11, s10, 31
	s_lshr_b32 s2, s3, 31
	s_mov_b32 s16, exec_lo
	s_add_i32 s2, s3, s2
	s_delay_alu instid0(SALU_CYCLE_1) | instskip(NEXT) | instid1(SALU_CYCLE_1)
	s_ashr_i32 s14, s2, 1
	v_cmpx_gt_i32_e64 s14, v0
	s_cbranch_execz .LBB3_8
; %bb.5:
	v_lshlrev_b32_e32 v1, 3, v0
	s_lshl_b64 s[18:19], s[10:11], 2
	s_add_u32 s2, s4, s6
	s_addc_u32 s17, s5, s7
	s_add_u32 s2, s2, s18
	s_addc_u32 s17, s17, s19
	v_add_co_u32 v1, s2, s2, v1
	s_delay_alu instid0(VALU_DEP_1) | instskip(SKIP_1) | instid1(VALU_DEP_3)
	v_add_co_ci_u32_e64 v2, null, s17, 0, s2
	v_mov_b32_e32 v3, v0
	v_add_co_u32 v1, vcc_lo, v1, 4
	s_delay_alu instid0(VALU_DEP_3)
	v_add_co_ci_u32_e32 v2, vcc_lo, 0, v2, vcc_lo
	s_mov_b32 s17, 0
	s_lshl_b32 s18, s12, 3
.LBB3_6:                                ; =>This Inner Loop Header: Depth=1
	global_load_b64 v[5:6], v[1:2], off offset:-4
	v_add_nc_u32_e32 v3, s12, v3
	v_add_co_u32 v1, vcc_lo, v1, s18
	v_add_co_ci_u32_e32 v2, vcc_lo, 0, v2, vcc_lo
	s_waitcnt vmcnt(0)
	v_fmac_f32_e32 v4, v5, v5
	v_cmp_le_i32_e64 s2, s14, v3
	s_delay_alu instid0(VALU_DEP_2) | instskip(NEXT) | instid1(VALU_DEP_2)
	v_fmac_f32_e32 v4, v6, v6
	s_or_b32 s17, s2, s17
	s_delay_alu instid0(SALU_CYCLE_1)
	s_and_not1_b32 exec_lo, exec_lo, s17
	s_cbranch_execnz .LBB3_6
; %bb.7:
	s_or_b32 exec_lo, exec_lo, s17
.LBB3_8:
	s_delay_alu instid0(SALU_CYCLE_1) | instskip(SKIP_2) | instid1(VALU_DEP_1)
	s_or_b32 exec_lo, exec_lo, s16
	v_lshl_add_u32 v1, s14, 1, v0
	s_mov_b32 s14, exec_lo
	v_cmpx_gt_i32_e64 s3, v1
	s_cbranch_execz .LBB3_12
; %bb.9:
	v_ashrrev_i32_e32 v2, 31, v1
	s_lshl_b64 s[10:11], s[10:11], 2
	s_add_u32 s2, s4, s6
	s_addc_u32 s16, s5, s7
	s_add_u32 s2, s2, s10
	v_lshlrev_b64 v[2:3], 2, v[1:2]
	s_addc_u32 s10, s16, s11
	s_lshl_b32 s11, s12, 2
	s_delay_alu instid0(VALU_DEP_1) | instskip(NEXT) | instid1(VALU_DEP_2)
	v_add_co_u32 v2, vcc_lo, s2, v2
	v_add_co_ci_u32_e32 v3, vcc_lo, s10, v3, vcc_lo
	s_mov_b32 s10, 0
.LBB3_10:                               ; =>This Inner Loop Header: Depth=1
	global_load_b32 v5, v[2:3], off
	v_add_nc_u32_e32 v1, s12, v1
	v_add_co_u32 v2, vcc_lo, v2, s11
	v_add_co_ci_u32_e32 v3, vcc_lo, 0, v3, vcc_lo
	s_delay_alu instid0(VALU_DEP_3) | instskip(NEXT) | instid1(VALU_DEP_1)
	v_cmp_le_i32_e64 s2, s3, v1
	s_or_b32 s10, s2, s10
	s_waitcnt vmcnt(0)
	v_fmac_f32_e32 v4, v5, v5
	s_and_not1_b32 exec_lo, exec_lo, s10
	s_cbranch_execnz .LBB3_10
; %bb.11:
	s_or_b32 exec_lo, exec_lo, s10
.LBB3_12:
	s_delay_alu instid0(SALU_CYCLE_1)
	s_or_b32 exec_lo, exec_lo, s14
	s_branch .LBB3_19
.LBB3_13:
                                        ; implicit-def: $vgpr4
	s_cbranch_execz .LBB3_19
; %bb.14:
	v_mov_b32_e32 v4, 0
	s_ashr_i32 s10, s13, 1
	s_mov_b32 s3, exec_lo
	v_cmpx_gt_i32_e64 s10, v0
	s_cbranch_execz .LBB3_18
; %bb.15:
	v_dual_mov_b32 v4, 0 :: v_dual_lshlrev_b32 v1, 3, v0
	s_add_u32 s2, s4, s6
	s_addc_u32 s4, s5, s7
	v_mov_b32_e32 v3, v0
	s_delay_alu instid0(VALU_DEP_2) | instskip(NEXT) | instid1(VALU_DEP_1)
	v_add_co_u32 v1, s2, s2, v1
	v_add_co_ci_u32_e64 v2, null, s4, 0, s2
	s_mov_b32 s4, 0
	s_delay_alu instid0(VALU_DEP_2) | instskip(NEXT) | instid1(VALU_DEP_2)
	v_add_co_u32 v1, vcc_lo, v1, 4
	v_add_co_ci_u32_e32 v2, vcc_lo, 0, v2, vcc_lo
	s_lshl_b32 s5, s12, 3
.LBB3_16:                               ; =>This Inner Loop Header: Depth=1
	global_load_b64 v[5:6], v[1:2], off offset:-4
	v_add_nc_u32_e32 v3, s12, v3
	v_add_co_u32 v1, vcc_lo, v1, s5
	v_add_co_ci_u32_e32 v2, vcc_lo, 0, v2, vcc_lo
	s_waitcnt vmcnt(0)
	v_fmac_f32_e32 v4, v5, v5
	v_cmp_le_i32_e64 s2, s10, v3
	s_delay_alu instid0(VALU_DEP_2) | instskip(NEXT) | instid1(VALU_DEP_2)
	v_fmac_f32_e32 v4, v6, v6
	s_or_b32 s4, s2, s4
	s_delay_alu instid0(SALU_CYCLE_1)
	s_and_not1_b32 exec_lo, exec_lo, s4
	s_cbranch_execnz .LBB3_16
; %bb.17:
	s_or_b32 exec_lo, exec_lo, s4
.LBB3_18:
	s_delay_alu instid0(SALU_CYCLE_1)
	s_or_b32 exec_lo, exec_lo, s3
.LBB3_19:
	v_mbcnt_lo_u32_b32 v1, -1, 0
	v_and_b32_e32 v3, 0x3e0, v0
	s_mov_b32 s2, exec_lo
	s_delay_alu instid0(VALU_DEP_2) | instskip(NEXT) | instid1(VALU_DEP_2)
	v_cmp_ne_u32_e32 vcc_lo, 31, v1
	v_sub_nc_u32_e64 v12, s12, v3 clamp
	v_add_nc_u32_e32 v3, 1, v1
	v_add_co_ci_u32_e32 v2, vcc_lo, 0, v1, vcc_lo
	v_cmp_gt_u32_e32 vcc_lo, 30, v1
	s_delay_alu instid0(VALU_DEP_2)
	v_lshlrev_b32_e32 v2, 2, v2
	v_cndmask_b32_e64 v6, 0, 1, vcc_lo
	v_cmp_lt_u32_e32 vcc_lo, v3, v12
	ds_bpermute_b32 v5, v2, v4
	s_waitcnt lgkmcnt(0)
	v_dual_add_f32 v7, v4, v5 :: v_dual_lshlrev_b32 v6, 1, v6
	s_delay_alu instid0(VALU_DEP_1) | instskip(NEXT) | instid1(VALU_DEP_2)
	v_cndmask_b32_e32 v7, v4, v7, vcc_lo
	v_add_lshl_u32 v5, v6, v1, 2
	v_cmp_gt_u32_e32 vcc_lo, 28, v1
	ds_bpermute_b32 v6, v5, v7
	v_cndmask_b32_e64 v4, 0, 1, vcc_lo
	s_delay_alu instid0(VALU_DEP_1) | instskip(SKIP_1) | instid1(VALU_DEP_1)
	v_lshlrev_b32_e32 v8, 2, v4
	v_add_nc_u32_e32 v4, 2, v1
	v_cmp_lt_u32_e32 vcc_lo, v4, v12
	s_waitcnt lgkmcnt(0)
	v_add_f32_e32 v9, v7, v6
	v_add_lshl_u32 v6, v8, v1, 2
	s_delay_alu instid0(VALU_DEP_2) | instskip(SKIP_2) | instid1(VALU_DEP_1)
	v_cndmask_b32_e32 v9, v7, v9, vcc_lo
	v_cmp_gt_u32_e32 vcc_lo, 24, v1
	v_cndmask_b32_e64 v7, 0, 1, vcc_lo
	v_lshlrev_b32_e32 v10, 3, v7
	ds_bpermute_b32 v8, v6, v9
	v_add_nc_u32_e32 v7, 4, v1
	s_delay_alu instid0(VALU_DEP_1) | instskip(SKIP_3) | instid1(VALU_DEP_2)
	v_cmp_lt_u32_e32 vcc_lo, v7, v12
	s_waitcnt lgkmcnt(0)
	v_add_f32_e32 v11, v9, v8
	v_add_lshl_u32 v8, v10, v1, 2
	v_cndmask_b32_e32 v11, v9, v11, vcc_lo
	v_cmp_gt_u32_e32 vcc_lo, 16, v1
	ds_bpermute_b32 v10, v8, v11
	v_cndmask_b32_e64 v9, 0, 1, vcc_lo
	s_delay_alu instid0(VALU_DEP_1) | instskip(SKIP_1) | instid1(VALU_DEP_1)
	v_lshlrev_b32_e32 v13, 4, v9
	v_add_nc_u32_e32 v9, 8, v1
	v_cmp_lt_u32_e32 vcc_lo, v9, v12
	s_waitcnt lgkmcnt(0)
	v_add_f32_e32 v14, v11, v10
	v_add_lshl_u32 v10, v13, v1, 2
	s_delay_alu instid0(VALU_DEP_2)
	v_cndmask_b32_e32 v13, v11, v14, vcc_lo
	v_add_nc_u32_e32 v11, 16, v1
	ds_bpermute_b32 v14, v10, v13
	v_cmp_lt_u32_e32 vcc_lo, v11, v12
	s_waitcnt lgkmcnt(0)
	v_add_f32_e32 v14, v13, v14
	s_delay_alu instid0(VALU_DEP_1)
	v_cndmask_b32_e32 v12, v13, v14, vcc_lo
	v_cmpx_eq_u32_e32 0, v1
	s_cbranch_execz .LBB3_21
; %bb.20:
	v_lshrrev_b32_e32 v13, 3, v0
	s_delay_alu instid0(VALU_DEP_1)
	v_and_b32_e32 v13, 0x7c, v13
	ds_store_b32 v13, v12
.LBB3_21:
	s_or_b32 exec_lo, exec_lo, s2
	s_delay_alu instid0(SALU_CYCLE_1)
	s_mov_b32 s2, exec_lo
	s_waitcnt lgkmcnt(0)
	s_barrier
	buffer_gl0_inv
	v_cmpx_gt_u32_e32 32, v0
	s_cbranch_execz .LBB3_23
; %bb.22:
	v_lshlrev_b32_e32 v1, 2, v1
	s_add_i32 s3, s12, 31
	s_delay_alu instid0(SALU_CYCLE_1) | instskip(NEXT) | instid1(SALU_CYCLE_1)
	s_lshr_b32 s3, s3, 5
	v_cmp_gt_u32_e32 vcc_lo, s3, v3
	ds_load_b32 v1, v1
	s_waitcnt lgkmcnt(0)
	ds_bpermute_b32 v2, v2, v1
	s_waitcnt lgkmcnt(0)
	v_add_f32_e32 v2, v1, v2
	s_delay_alu instid0(VALU_DEP_1) | instskip(SKIP_4) | instid1(VALU_DEP_1)
	v_cndmask_b32_e32 v1, v1, v2, vcc_lo
	v_cmp_gt_u32_e32 vcc_lo, s3, v4
	ds_bpermute_b32 v2, v5, v1
	s_waitcnt lgkmcnt(0)
	v_add_f32_e32 v2, v1, v2
	v_cndmask_b32_e32 v1, v1, v2, vcc_lo
	v_cmp_gt_u32_e32 vcc_lo, s3, v7
	ds_bpermute_b32 v2, v6, v1
	s_waitcnt lgkmcnt(0)
	v_add_f32_e32 v2, v1, v2
	s_delay_alu instid0(VALU_DEP_1) | instskip(SKIP_4) | instid1(VALU_DEP_1)
	v_cndmask_b32_e32 v1, v1, v2, vcc_lo
	v_cmp_gt_u32_e32 vcc_lo, s3, v9
	ds_bpermute_b32 v2, v8, v1
	s_waitcnt lgkmcnt(0)
	v_add_f32_e32 v2, v1, v2
	v_cndmask_b32_e32 v1, v1, v2, vcc_lo
	v_cmp_gt_u32_e32 vcc_lo, s3, v11
	ds_bpermute_b32 v2, v10, v1
	s_waitcnt lgkmcnt(0)
	v_add_f32_e32 v2, v1, v2
	s_delay_alu instid0(VALU_DEP_1)
	v_cndmask_b32_e32 v12, v1, v2, vcc_lo
.LBB3_23:
	s_or_b32 exec_lo, exec_lo, s2
	s_delay_alu instid0(SALU_CYCLE_1)
	s_mov_b32 s2, exec_lo
	v_cmpx_eq_u32_e32 0, v0
	s_cbranch_execz .LBB3_25
; %bb.24:
	v_cvt_f32_i32_e32 v1, s13
	s_load_b32 s3, s[0:1], 0x28
	s_delay_alu instid0(VALU_DEP_1) | instskip(SKIP_1) | instid1(VALU_DEP_2)
	v_div_scale_f32 v2, null, v1, v1, v12
	v_div_scale_f32 v5, vcc_lo, v12, v1, v12
	v_rcp_f32_e32 v3, v2
	s_waitcnt_depctr 0xfff
	v_fma_f32 v4, -v2, v3, 1.0
	s_delay_alu instid0(VALU_DEP_1) | instskip(NEXT) | instid1(VALU_DEP_1)
	v_fmac_f32_e32 v3, v4, v3
	v_mul_f32_e32 v4, v5, v3
	s_delay_alu instid0(VALU_DEP_1) | instskip(NEXT) | instid1(VALU_DEP_1)
	v_fma_f32 v6, -v2, v4, v5
	v_fmac_f32_e32 v4, v6, v3
	s_delay_alu instid0(VALU_DEP_1) | instskip(NEXT) | instid1(VALU_DEP_1)
	v_fma_f32 v2, -v2, v4, v5
	v_div_fmas_f32 v2, v2, v3, v4
	s_delay_alu instid0(VALU_DEP_1) | instskip(SKIP_1) | instid1(VALU_DEP_1)
	v_div_fixup_f32 v1, v2, v1, v12
	s_waitcnt lgkmcnt(0)
	v_add_f32_e32 v1, s3, v1
	s_delay_alu instid0(VALU_DEP_1) | instskip(SKIP_1) | instid1(VALU_DEP_2)
	v_mul_f32_e32 v2, 0x4b800000, v1
	v_cmp_gt_f32_e32 vcc_lo, 0x800000, v1
	v_cndmask_b32_e32 v1, v1, v2, vcc_lo
	s_delay_alu instid0(VALU_DEP_1) | instskip(SKIP_2) | instid1(VALU_DEP_1)
	v_rsq_f32_e32 v1, v1
	s_waitcnt_depctr 0xfff
	v_mul_f32_e32 v2, 0x45800000, v1
	v_dual_cndmask_b32 v1, v1, v2 :: v_dual_mov_b32 v2, 0
	ds_store_b32 v2, v1 offset:128
.LBB3_25:
	s_or_b32 exec_lo, exec_lo, s2
	s_lshr_b32 s2, s13, 31
	s_waitcnt lgkmcnt(0)
	s_add_i32 s2, s13, s2
	s_barrier
	s_ashr_i32 s10, s2, 1
	buffer_gl0_inv
	s_mov_b32 s2, exec_lo
	v_cmpx_gt_i32_e64 s10, v0
	s_cbranch_execz .LBB3_60
; %bb.26:
	s_clause 0x1
	s_load_b128 s[4:7], s[0:1], 0x18
	s_load_b64 s[2:3], s[0:1], 0x0
	s_mul_i32 s15, s15, s13
	s_lshl_b32 s11, s12, 3
	v_lshl_add_u32 v12, v0, 1, s15
	s_mov_b32 s13, 0x43e00000
	s_waitcnt lgkmcnt(0)
	s_load_b32 s7, s[6:7], 0x0
	s_lshl_b32 s6, s12, 1
	s_waitcnt lgkmcnt(0)
	v_div_scale_f32 v1, null, s7, s7, 1.0
	v_div_scale_f32 v4, vcc_lo, 1.0, s7, 1.0
	s_delay_alu instid0(VALU_DEP_2) | instskip(SKIP_2) | instid1(VALU_DEP_1)
	v_rcp_f32_e32 v3, v1
	s_waitcnt_depctr 0xfff
	v_fma_f32 v2, -v1, v3, 1.0
	v_dual_fmac_f32 v3, v2, v3 :: v_dual_mov_b32 v2, 0
	s_delay_alu instid0(VALU_DEP_1) | instskip(SKIP_2) | instid1(VALU_DEP_1)
	v_mul_f32_e32 v5, v4, v3
	ds_load_b32 v11, v2 offset:128
	v_fma_f32 v6, -v1, v5, v4
	v_fmac_f32_e32 v5, v6, v3
	s_delay_alu instid0(VALU_DEP_1) | instskip(NEXT) | instid1(VALU_DEP_1)
	v_fma_f32 v1, -v1, v5, v4
	v_div_fmas_f32 v3, v1, v3, v5
	v_lshl_or_b32 v1, v0, 3, 4
	s_delay_alu instid0(VALU_DEP_2) | instskip(NEXT) | instid1(VALU_DEP_2)
	v_div_fixup_f32 v13, v3, s7, 1.0
	v_dual_mov_b32 v4, v2 :: v_dual_mov_b32 v3, v1
	s_mov_b32 s7, 0
	s_branch .LBB3_28
.LBB3_27:                               ;   in Loop: Header=BB3_28 Depth=1
	s_or_b32 exec_lo, exec_lo, s0
	v_add_nc_u32_e32 v0, s12, v0
	v_add_co_u32 v3, s0, v3, s11
	v_add_nc_u32_e32 v1, 1, v12
	v_add_nc_u32_e32 v12, s6, v12
	s_delay_alu instid0(VALU_DEP_4) | instskip(SKIP_3) | instid1(SALU_CYCLE_1)
	v_cmp_le_i32_e32 vcc_lo, s10, v0
	v_add_co_ci_u32_e64 v4, s0, 0, v4, s0
	global_store_b8 v1, v6, s[2:3]
	s_or_b32 s7, vcc_lo, s7
	s_and_not1_b32 exec_lo, exec_lo, s7
	s_cbranch_execz .LBB3_60
.LBB3_28:                               ; =>This Inner Loop Header: Depth=1
	s_delay_alu instid0(VALU_DEP_1) | instskip(NEXT) | instid1(VALU_DEP_2)
	v_add_co_u32 v5, vcc_lo, s8, v3
	v_add_co_ci_u32_e32 v6, vcc_lo, s9, v4, vcc_lo
	v_add_co_u32 v7, vcc_lo, s4, v3
	v_add_co_ci_u32_e32 v8, vcc_lo, s5, v4, vcc_lo
	global_load_b64 v[5:6], v[5:6], off offset:-4
	v_mov_b32_e32 v15, v2
	s_mov_b32 s0, exec_lo
	global_load_b64 v[7:8], v[7:8], off offset:-4
	s_waitcnt vmcnt(1) lgkmcnt(0)
	v_mul_f32_e32 v1, v5, v11
	s_waitcnt vmcnt(0)
	s_delay_alu instid0(VALU_DEP_1) | instskip(NEXT) | instid1(VALU_DEP_1)
	v_mul_f32_e32 v1, v1, v7
	v_mul_f32_e32 v1, v13, v1
	s_delay_alu instid0(VALU_DEP_1) | instskip(NEXT) | instid1(VALU_DEP_1)
	v_minmax_f32 v7, v1, s13, 0xc3e00000
	v_and_b32_e32 v14, 0x7f800000, v7
	v_lshrrev_b32_e32 v9, 24, v7
	v_and_b32_e32 v1, 0x7fffff, v7
	s_delay_alu instid0(VALU_DEP_2) | instskip(NEXT) | instid1(VALU_DEP_1)
	v_and_b32_e32 v5, 0x80, v9
	v_or_b32_e32 v10, 0x7e, v5
	v_cmpx_ne_u64_e32 0x7f800000, v[14:15]
	s_xor_b32 s14, exec_lo, s0
	s_cbranch_execz .LBB3_42
; %bb.29:                               ;   in Loop: Header=BB3_28 Depth=1
	v_dual_mov_b32 v15, v2 :: v_dual_and_b32 v14, 0x7fffffff, v7
	s_mov_b32 s0, exec_lo
	s_delay_alu instid0(VALU_DEP_1)
	v_cmpx_gt_u64_e32 0x43e00001, v[14:15]
	s_xor_b32 s15, exec_lo, s0
	s_cbranch_execz .LBB3_41
; %bb.30:                               ;   in Loop: Header=BB3_28 Depth=1
	v_mov_b32_e32 v10, 0
	s_mov_b32 s16, exec_lo
	v_cmpx_ne_u32_e32 0, v7
	s_cbranch_execz .LBB3_40
; %bb.31:                               ;   in Loop: Header=BB3_28 Depth=1
	v_bfe_u32 v7, v7, 23, 8
	s_delay_alu instid0(VALU_DEP_1) | instskip(SKIP_2) | instid1(VALU_DEP_3)
	v_sub_nc_u32_e64 v9, 0x79, v7 clamp
	v_cmp_eq_u32_e32 vcc_lo, 0, v7
	v_add_nc_u32_e32 v7, 0xffffff88, v7
	v_cndmask_b32_e64 v14, v9, 0x78, vcc_lo
	v_or_b32_e32 v9, 0x800000, v1
	s_delay_alu instid0(VALU_DEP_1) | instskip(SKIP_1) | instid1(VALU_DEP_2)
	v_dual_cndmask_b32 v1, v9, v1 :: v_dual_add_nc_u32 v10, 20, v14
	v_add_nc_u32_e32 v17, 19, v14
	v_lshlrev_b64 v[9:10], v10, -1
	s_delay_alu instid0(VALU_DEP_3) | instskip(NEXT) | instid1(VALU_DEP_2)
	v_lshrrev_b64 v[15:16], v14, v[1:2]
	v_not_b32_e32 v18, v10
	s_delay_alu instid0(VALU_DEP_3) | instskip(SKIP_1) | instid1(VALU_DEP_3)
	v_not_b32_e32 v19, v9
	v_lshlrev_b64 v[9:10], v17, 1
	v_and_b32_e32 v18, 0, v18
	s_delay_alu instid0(VALU_DEP_3) | instskip(SKIP_1) | instid1(VALU_DEP_2)
	v_and_b32_e32 v17, v1, v19
	v_and_b32_e32 v1, 0x100000, v15
	v_cmp_eq_u64_e64 s0, v[17:18], v[9:10]
	s_delay_alu instid0(VALU_DEP_2) | instskip(SKIP_2) | instid1(VALU_DEP_3)
	v_cmp_eq_u64_e64 s1, 0, v[1:2]
	v_cndmask_b32_e64 v1, v7, 0xffffff89, vcc_lo
	v_lshrrev_b32_e32 v7, 23, v15
	s_and_b32 vcc_lo, s1, s0
	s_delay_alu instid0(VALU_DEP_1) | instskip(SKIP_2) | instid1(VALU_DEP_2)
	v_add3_u32 v7, v1, v14, v7
	v_subrev_co_ci_u32_e32 v9, vcc_lo, 0, v15, vcc_lo
	s_mov_b32 s0, exec_lo
	v_add_nc_u32_e32 v14, -1, v7
	s_delay_alu instid0(VALU_DEP_2) | instskip(NEXT) | instid1(VALU_DEP_1)
	v_and_b32_e32 v1, 0xfffff, v9
	v_add_co_u32 v9, vcc_lo, v1, v15
	v_add_co_ci_u32_e32 v10, vcc_lo, 0, v16, vcc_lo
                                        ; implicit-def: $vgpr1
	s_delay_alu instid0(VALU_DEP_4)
	v_cmpx_ne_u32_e32 0, v14
	s_xor_b32 s0, exec_lo, s0
; %bb.32:                               ;   in Loop: Header=BB3_28 Depth=1
	s_delay_alu instid0(VALU_DEP_3) | instskip(SKIP_1) | instid1(VALU_DEP_2)
	v_and_b32_e32 v1, 0x1000000, v9
	v_bfe_u32 v15, v9, 24, 1
	v_cmp_eq_u64_e32 vcc_lo, 0, v[1:2]
	s_delay_alu instid0(VALU_DEP_2)
	v_lshrrev_b64 v[9:10], v15, v[9:10]
	v_cndmask_b32_e32 v1, v7, v14, vcc_lo
; %bb.33:                               ;   in Loop: Header=BB3_28 Depth=1
	s_and_not1_saveexec_b32 s0, s0
; %bb.34:                               ;   in Loop: Header=BB3_28 Depth=1
	s_delay_alu instid0(VALU_DEP_2)
	v_bfe_u32 v1, v9, 23, 1
; %bb.35:                               ;   in Loop: Header=BB3_28 Depth=1
	s_or_b32 exec_lo, exec_lo, s0
	s_delay_alu instid0(VALU_DEP_3) | instskip(NEXT) | instid1(VALU_DEP_2)
	v_lshrrev_b64 v[9:10], 20, v[9:10]
	v_cmp_gt_i32_e32 vcc_lo, 16, v1
	v_cmp_ne_u32_e64 s0, 0, v1
	s_delay_alu instid0(VALU_DEP_3) | instskip(NEXT) | instid1(VALU_DEP_1)
	v_dual_cndmask_b32 v10, 0, v10 :: v_dual_cndmask_b32 v9, 7, v9
	v_cmp_ne_u64_e32 vcc_lo, 0, v[9:10]
                                        ; implicit-def: $vgpr10
	s_delay_alu instid0(VALU_DEP_3) | instskip(NEXT) | instid1(SALU_CYCLE_1)
	s_or_b32 s0, s0, vcc_lo
	s_and_saveexec_b32 s1, s0
	s_delay_alu instid0(SALU_CYCLE_1)
	s_xor_b32 s0, exec_lo, s1
; %bb.36:                               ;   in Loop: Header=BB3_28 Depth=1
	v_min_i32_e32 v1, 15, v1
	s_delay_alu instid0(VALU_DEP_1) | instskip(NEXT) | instid1(VALU_DEP_1)
	v_lshl_or_b32 v1, v1, 3, v5
                                        ; implicit-def: $vgpr5
	v_and_or_b32 v10, v9, 7, v1
; %bb.37:                               ;   in Loop: Header=BB3_28 Depth=1
	s_and_not1_saveexec_b32 s0, s0
; %bb.38:                               ;   in Loop: Header=BB3_28 Depth=1
	v_mov_b32_e32 v10, v5
; %bb.39:                               ;   in Loop: Header=BB3_28 Depth=1
	s_or_b32 exec_lo, exec_lo, s0
.LBB3_40:                               ;   in Loop: Header=BB3_28 Depth=1
	s_delay_alu instid0(SALU_CYCLE_1)
	s_or_b32 exec_lo, exec_lo, s16
.LBB3_41:                               ;   in Loop: Header=BB3_28 Depth=1
	s_and_not1_saveexec_b32 s0, s15
	s_delay_alu instid0(SALU_CYCLE_1)
	s_or_b32 exec_lo, exec_lo, s0
                                        ; implicit-def: $vgpr9
.LBB3_42:                               ;   in Loop: Header=BB3_28 Depth=1
	s_and_not1_saveexec_b32 s0, s14
; %bb.43:                               ;   in Loop: Header=BB3_28 Depth=1
	v_cmp_eq_u64_e32 vcc_lo, 0, v[1:2]
	v_or_b32_e32 v5, 0x7f, v9
	s_delay_alu instid0(VALU_DEP_1)
	v_cndmask_b32_e32 v10, v5, v10, vcc_lo
; %bb.44:                               ;   in Loop: Header=BB3_28 Depth=1
	s_or_b32 exec_lo, exec_lo, s0
	v_mul_f32_e32 v1, v6, v11
	v_mov_b32_e32 v15, v2
	global_store_b8 v12, v10, s[2:3]
	s_mov_b32 s0, exec_lo
	v_mul_f32_e32 v1, v1, v8
	s_delay_alu instid0(VALU_DEP_1) | instskip(NEXT) | instid1(VALU_DEP_1)
	v_mul_f32_e32 v1, v13, v1
	v_minmax_f32 v5, v1, s13, 0xc3e00000
	s_delay_alu instid0(VALU_DEP_1) | instskip(SKIP_2) | instid1(VALU_DEP_2)
	v_and_b32_e32 v14, 0x7f800000, v5
	v_lshrrev_b32_e32 v8, 24, v5
	v_and_b32_e32 v1, 0x7fffff, v5
	v_and_b32_e32 v7, 0x80, v8
	s_delay_alu instid0(VALU_DEP_1)
	v_or_b32_e32 v6, 0x7e, v7
	v_cmpx_ne_u64_e32 0x7f800000, v[14:15]
	s_xor_b32 s14, exec_lo, s0
	s_cbranch_execz .LBB3_58
; %bb.45:                               ;   in Loop: Header=BB3_28 Depth=1
	v_dual_mov_b32 v9, v2 :: v_dual_and_b32 v8, 0x7fffffff, v5
	s_mov_b32 s0, exec_lo
	s_delay_alu instid0(VALU_DEP_1)
	v_cmpx_gt_u64_e32 0x43e00001, v[8:9]
	s_xor_b32 s15, exec_lo, s0
	s_cbranch_execz .LBB3_57
; %bb.46:                               ;   in Loop: Header=BB3_28 Depth=1
	v_mov_b32_e32 v6, 0
	s_mov_b32 s16, exec_lo
	v_cmpx_ne_u32_e32 0, v5
	s_cbranch_execz .LBB3_56
; %bb.47:                               ;   in Loop: Header=BB3_28 Depth=1
	v_bfe_u32 v10, v5, 23, 8
	s_delay_alu instid0(VALU_DEP_1) | instskip(SKIP_2) | instid1(VALU_DEP_3)
	v_sub_nc_u32_e64 v5, 0x79, v10 clamp
	v_cmp_eq_u32_e32 vcc_lo, 0, v10
	v_add_nc_u32_e32 v10, 0xffffff88, v10
	v_cndmask_b32_e64 v16, v5, 0x78, vcc_lo
	v_or_b32_e32 v5, 0x800000, v1
	s_delay_alu instid0(VALU_DEP_1) | instskip(SKIP_1) | instid1(VALU_DEP_2)
	v_dual_cndmask_b32 v1, v5, v1 :: v_dual_add_nc_u32 v6, 20, v16
	v_add_nc_u32_e32 v8, 19, v16
	v_lshlrev_b64 v[5:6], v6, -1
	s_delay_alu instid0(VALU_DEP_3) | instskip(NEXT) | instid1(VALU_DEP_2)
	v_lshrrev_b64 v[14:15], v16, v[1:2]
	v_not_b32_e32 v9, v6
	s_delay_alu instid0(VALU_DEP_3) | instskip(SKIP_1) | instid1(VALU_DEP_3)
	v_not_b32_e32 v17, v5
	v_lshlrev_b64 v[5:6], v8, 1
	v_and_b32_e32 v9, 0, v9
	s_delay_alu instid0(VALU_DEP_3) | instskip(SKIP_1) | instid1(VALU_DEP_2)
	v_and_b32_e32 v8, v1, v17
	v_and_b32_e32 v1, 0x100000, v14
	v_cmp_eq_u64_e64 s0, v[8:9], v[5:6]
	s_delay_alu instid0(VALU_DEP_2) | instskip(SKIP_2) | instid1(VALU_DEP_3)
	v_cmp_eq_u64_e64 s1, 0, v[1:2]
	v_cndmask_b32_e64 v1, v10, 0xffffff89, vcc_lo
	v_lshrrev_b32_e32 v5, 23, v14
	s_and_b32 vcc_lo, s1, s0
	s_delay_alu instid0(VALU_DEP_1) | instskip(SKIP_2) | instid1(VALU_DEP_2)
	v_add3_u32 v8, v1, v16, v5
	v_subrev_co_ci_u32_e32 v6, vcc_lo, 0, v14, vcc_lo
	s_mov_b32 s0, exec_lo
	v_add_nc_u32_e32 v9, -1, v8
	s_delay_alu instid0(VALU_DEP_2) | instskip(NEXT) | instid1(VALU_DEP_1)
	v_and_b32_e32 v1, 0xfffff, v6
	v_add_co_u32 v5, vcc_lo, v1, v14
	v_add_co_ci_u32_e32 v6, vcc_lo, 0, v15, vcc_lo
                                        ; implicit-def: $vgpr1
	s_delay_alu instid0(VALU_DEP_4)
	v_cmpx_ne_u32_e32 0, v9
	s_xor_b32 s0, exec_lo, s0
; %bb.48:                               ;   in Loop: Header=BB3_28 Depth=1
	s_delay_alu instid0(VALU_DEP_3) | instskip(SKIP_1) | instid1(VALU_DEP_2)
	v_and_b32_e32 v1, 0x1000000, v5
	v_bfe_u32 v10, v5, 24, 1
	v_cmp_eq_u64_e32 vcc_lo, 0, v[1:2]
	s_delay_alu instid0(VALU_DEP_2)
	v_lshrrev_b64 v[5:6], v10, v[5:6]
	v_cndmask_b32_e32 v1, v8, v9, vcc_lo
; %bb.49:                               ;   in Loop: Header=BB3_28 Depth=1
	s_and_not1_saveexec_b32 s0, s0
; %bb.50:                               ;   in Loop: Header=BB3_28 Depth=1
	s_delay_alu instid0(VALU_DEP_2)
	v_bfe_u32 v1, v5, 23, 1
; %bb.51:                               ;   in Loop: Header=BB3_28 Depth=1
	s_or_b32 exec_lo, exec_lo, s0
	s_delay_alu instid0(VALU_DEP_3) | instskip(NEXT) | instid1(VALU_DEP_2)
	v_lshrrev_b64 v[5:6], 20, v[5:6]
	v_cmp_gt_i32_e32 vcc_lo, 16, v1
	v_cmp_ne_u32_e64 s0, 0, v1
	s_delay_alu instid0(VALU_DEP_3) | instskip(NEXT) | instid1(VALU_DEP_1)
	v_dual_cndmask_b32 v6, 0, v6 :: v_dual_cndmask_b32 v5, 7, v5
	v_cmp_ne_u64_e32 vcc_lo, 0, v[5:6]
                                        ; implicit-def: $vgpr6
	s_delay_alu instid0(VALU_DEP_3) | instskip(NEXT) | instid1(SALU_CYCLE_1)
	s_or_b32 s0, s0, vcc_lo
	s_and_saveexec_b32 s1, s0
	s_delay_alu instid0(SALU_CYCLE_1)
	s_xor_b32 s0, exec_lo, s1
; %bb.52:                               ;   in Loop: Header=BB3_28 Depth=1
	v_min_i32_e32 v1, 15, v1
	s_delay_alu instid0(VALU_DEP_1) | instskip(NEXT) | instid1(VALU_DEP_1)
	v_lshl_or_b32 v1, v1, 3, v7
                                        ; implicit-def: $vgpr7
	v_and_or_b32 v6, v5, 7, v1
; %bb.53:                               ;   in Loop: Header=BB3_28 Depth=1
	s_and_not1_saveexec_b32 s0, s0
; %bb.54:                               ;   in Loop: Header=BB3_28 Depth=1
	v_mov_b32_e32 v6, v7
; %bb.55:                               ;   in Loop: Header=BB3_28 Depth=1
	s_or_b32 exec_lo, exec_lo, s0
.LBB3_56:                               ;   in Loop: Header=BB3_28 Depth=1
	s_delay_alu instid0(SALU_CYCLE_1)
	s_or_b32 exec_lo, exec_lo, s16
.LBB3_57:                               ;   in Loop: Header=BB3_28 Depth=1
	s_and_not1_saveexec_b32 s0, s15
	s_delay_alu instid0(SALU_CYCLE_1)
	s_or_b32 exec_lo, exec_lo, s0
                                        ; implicit-def: $vgpr8
.LBB3_58:                               ;   in Loop: Header=BB3_28 Depth=1
	s_and_not1_saveexec_b32 s0, s14
	s_cbranch_execz .LBB3_27
; %bb.59:                               ;   in Loop: Header=BB3_28 Depth=1
	v_cmp_eq_u64_e32 vcc_lo, 0, v[1:2]
	v_or_b32_e32 v5, 0x7f, v8
	s_delay_alu instid0(VALU_DEP_1)
	v_cndmask_b32_e32 v6, v5, v6, vcc_lo
	s_branch .LBB3_27
.LBB3_60:
	s_nop 0
	s_sendmsg sendmsg(MSG_DEALLOC_VGPRS)
	s_endpgm
	.section	.rodata,"a",@progbits
	.p2align	6, 0x0
	.amdhsa_kernel _ZN4vllm32rms_norm_static_fp8_quant_kernelIfN3c1013Float8_e4m3fnELi2EEEvPT0_PKT_iS7_PKffii
		.amdhsa_group_segment_fixed_size 132
		.amdhsa_private_segment_fixed_size 0
		.amdhsa_kernarg_size 312
		.amdhsa_user_sgpr_count 15
		.amdhsa_user_sgpr_dispatch_ptr 0
		.amdhsa_user_sgpr_queue_ptr 0
		.amdhsa_user_sgpr_kernarg_segment_ptr 1
		.amdhsa_user_sgpr_dispatch_id 0
		.amdhsa_user_sgpr_private_segment_size 0
		.amdhsa_wavefront_size32 1
		.amdhsa_uses_dynamic_stack 0
		.amdhsa_enable_private_segment 0
		.amdhsa_system_sgpr_workgroup_id_x 1
		.amdhsa_system_sgpr_workgroup_id_y 0
		.amdhsa_system_sgpr_workgroup_id_z 0
		.amdhsa_system_sgpr_workgroup_info 0
		.amdhsa_system_vgpr_workitem_id 0
		.amdhsa_next_free_vgpr 20
		.amdhsa_next_free_sgpr 20
		.amdhsa_reserve_vcc 1
		.amdhsa_float_round_mode_32 0
		.amdhsa_float_round_mode_16_64 0
		.amdhsa_float_denorm_mode_32 3
		.amdhsa_float_denorm_mode_16_64 3
		.amdhsa_dx10_clamp 1
		.amdhsa_ieee_mode 1
		.amdhsa_fp16_overflow 0
		.amdhsa_workgroup_processor_mode 1
		.amdhsa_memory_ordered 1
		.amdhsa_forward_progress 0
		.amdhsa_shared_vgpr_count 0
		.amdhsa_exception_fp_ieee_invalid_op 0
		.amdhsa_exception_fp_denorm_src 0
		.amdhsa_exception_fp_ieee_div_zero 0
		.amdhsa_exception_fp_ieee_overflow 0
		.amdhsa_exception_fp_ieee_underflow 0
		.amdhsa_exception_fp_ieee_inexact 0
		.amdhsa_exception_int_div_zero 0
	.end_amdhsa_kernel
	.section	.text._ZN4vllm32rms_norm_static_fp8_quant_kernelIfN3c1013Float8_e4m3fnELi2EEEvPT0_PKT_iS7_PKffii,"axG",@progbits,_ZN4vllm32rms_norm_static_fp8_quant_kernelIfN3c1013Float8_e4m3fnELi2EEEvPT0_PKT_iS7_PKffii,comdat
.Lfunc_end3:
	.size	_ZN4vllm32rms_norm_static_fp8_quant_kernelIfN3c1013Float8_e4m3fnELi2EEEvPT0_PKT_iS7_PKffii, .Lfunc_end3-_ZN4vllm32rms_norm_static_fp8_quant_kernelIfN3c1013Float8_e4m3fnELi2EEEvPT0_PKT_iS7_PKffii
                                        ; -- End function
	.section	.AMDGPU.csdata,"",@progbits
; Kernel info:
; codeLenInByte = 2996
; NumSgprs: 22
; NumVgprs: 20
; ScratchSize: 0
; MemoryBound: 0
; FloatMode: 240
; IeeeMode: 1
; LDSByteSize: 132 bytes/workgroup (compile time only)
; SGPRBlocks: 2
; VGPRBlocks: 2
; NumSGPRsForWavesPerEU: 22
; NumVGPRsForWavesPerEU: 20
; Occupancy: 16
; WaveLimiterHint : 0
; COMPUTE_PGM_RSRC2:SCRATCH_EN: 0
; COMPUTE_PGM_RSRC2:USER_SGPR: 15
; COMPUTE_PGM_RSRC2:TRAP_HANDLER: 0
; COMPUTE_PGM_RSRC2:TGID_X_EN: 1
; COMPUTE_PGM_RSRC2:TGID_Y_EN: 0
; COMPUTE_PGM_RSRC2:TGID_Z_EN: 0
; COMPUTE_PGM_RSRC2:TIDIG_COMP_CNT: 0
	.section	.text._ZN4vllm32rms_norm_static_fp8_quant_kernelIfN3c1013Float8_e4m3fnELi1EEEvPT0_PKT_iS7_PKffii,"axG",@progbits,_ZN4vllm32rms_norm_static_fp8_quant_kernelIfN3c1013Float8_e4m3fnELi1EEEvPT0_PKT_iS7_PKffii,comdat
	.protected	_ZN4vllm32rms_norm_static_fp8_quant_kernelIfN3c1013Float8_e4m3fnELi1EEEvPT0_PKT_iS7_PKffii ; -- Begin function _ZN4vllm32rms_norm_static_fp8_quant_kernelIfN3c1013Float8_e4m3fnELi1EEEvPT0_PKT_iS7_PKffii
	.globl	_ZN4vllm32rms_norm_static_fp8_quant_kernelIfN3c1013Float8_e4m3fnELi1EEEvPT0_PKT_iS7_PKffii
	.p2align	8
	.type	_ZN4vllm32rms_norm_static_fp8_quant_kernelIfN3c1013Float8_e4m3fnELi1EEEvPT0_PKT_iS7_PKffii,@function
_ZN4vllm32rms_norm_static_fp8_quant_kernelIfN3c1013Float8_e4m3fnELi1EEEvPT0_PKT_iS7_PKffii: ; @_ZN4vllm32rms_norm_static_fp8_quant_kernelIfN3c1013Float8_e4m3fnELi1EEEvPT0_PKT_iS7_PKffii
; %bb.0:
	s_clause 0x3
	s_load_b32 s2, s[0:1], 0x10
	s_load_b64 s[4:5], s[0:1], 0x8
	s_load_b32 s11, s[0:1], 0x44
	s_load_b32 s8, s[0:1], 0x30
	s_mov_b32 s3, 0
	s_waitcnt lgkmcnt(0)
	s_mul_i32 s2, s15, s2
	s_delay_alu instid0(SALU_CYCLE_1) | instskip(NEXT) | instid1(SALU_CYCLE_1)
	s_lshl_b64 s[6:7], s[2:3], 2
	s_add_u32 s9, s4, s6
	s_addc_u32 s10, s5, s7
	s_and_b32 s2, s9, 3
	s_and_b32 s11, s11, 0xffff
	s_cmp_lg_u64 s[2:3], 0
	s_cbranch_scc0 .LBB4_6
; %bb.1:
	v_mov_b32_e32 v3, 0
	s_min_i32 s2, s8, 0
	s_mov_b32 s12, exec_lo
	s_sub_i32 s13, s8, s2
	s_delay_alu instid0(SALU_CYCLE_1)
	v_cmpx_gt_i32_e64 s13, v0
	s_cbranch_execz .LBB4_5
; %bb.2:
	s_ashr_i32 s3, s2, 31
	v_dual_mov_b32 v4, v0 :: v_dual_lshlrev_b32 v1, 2, v0
	s_lshl_b64 s[2:3], s[2:3], 2
	s_add_u32 s14, s4, s6
	s_addc_u32 s16, s5, s7
	s_add_u32 s2, s14, s2
	s_addc_u32 s3, s16, s3
	v_add_co_u32 v1, s2, s2, v1
	s_delay_alu instid0(VALU_DEP_1)
	v_add_co_ci_u32_e64 v2, null, s3, 0, s2
	v_mov_b32_e32 v3, 0
	s_mov_b32 s3, 0
	s_lshl_b32 s14, s11, 2
.LBB4_3:                                ; =>This Inner Loop Header: Depth=1
	global_load_b32 v5, v[1:2], off
	v_add_nc_u32_e32 v4, s11, v4
	v_add_co_u32 v1, vcc_lo, v1, s14
	v_add_co_ci_u32_e32 v2, vcc_lo, 0, v2, vcc_lo
	s_waitcnt vmcnt(0)
	v_fmac_f32_e32 v3, v5, v5
	v_cmp_le_i32_e64 s2, s13, v4
	s_delay_alu instid0(VALU_DEP_1) | instskip(NEXT) | instid1(SALU_CYCLE_1)
	s_or_b32 s3, s2, s3
	s_and_not1_b32 exec_lo, exec_lo, s3
	s_cbranch_execnz .LBB4_3
; %bb.4:
	s_or_b32 exec_lo, exec_lo, s3
.LBB4_5:
	s_delay_alu instid0(SALU_CYCLE_1)
	s_or_b32 exec_lo, exec_lo, s12
	v_cmp_gt_i32_e64 s2, s8, v0
	s_cbranch_execz .LBB4_7
	s_branch .LBB4_12
.LBB4_6:
                                        ; implicit-def: $vgpr3
	v_cmp_gt_i32_e64 s2, s8, v0
.LBB4_7:
	v_mov_b32_e32 v3, 0
	s_delay_alu instid0(VALU_DEP_2)
	s_and_saveexec_b32 s3, s2
	s_cbranch_execz .LBB4_11
; %bb.8:
	v_dual_mov_b32 v4, v0 :: v_dual_lshlrev_b32 v1, 2, v0
	s_add_u32 s2, s4, s6
	s_addc_u32 s4, s5, s7
	v_mov_b32_e32 v3, 0
	s_delay_alu instid0(VALU_DEP_2) | instskip(NEXT) | instid1(VALU_DEP_1)
	v_add_co_u32 v1, s2, s2, v1
	v_add_co_ci_u32_e64 v2, null, s4, 0, s2
	s_mov_b32 s4, 0
	s_lshl_b32 s5, s11, 2
.LBB4_9:                                ; =>This Inner Loop Header: Depth=1
	global_load_b32 v5, v[1:2], off
	v_add_nc_u32_e32 v4, s11, v4
	v_add_co_u32 v1, vcc_lo, v1, s5
	v_add_co_ci_u32_e32 v2, vcc_lo, 0, v2, vcc_lo
	s_waitcnt vmcnt(0)
	v_fmac_f32_e32 v3, v5, v5
	v_cmp_le_i32_e64 s2, s8, v4
	s_delay_alu instid0(VALU_DEP_1) | instskip(NEXT) | instid1(SALU_CYCLE_1)
	s_or_b32 s4, s2, s4
	s_and_not1_b32 exec_lo, exec_lo, s4
	s_cbranch_execnz .LBB4_9
; %bb.10:
	s_or_b32 exec_lo, exec_lo, s4
.LBB4_11:
	s_delay_alu instid0(SALU_CYCLE_1)
	s_or_b32 exec_lo, exec_lo, s3
.LBB4_12:
	v_mbcnt_lo_u32_b32 v1, -1, 0
	s_mov_b32 s2, exec_lo
	s_delay_alu instid0(VALU_DEP_1) | instskip(SKIP_2) | instid1(VALU_DEP_2)
	v_cmp_ne_u32_e32 vcc_lo, 31, v1
	v_add_co_ci_u32_e32 v2, vcc_lo, 0, v1, vcc_lo
	v_cmp_gt_u32_e32 vcc_lo, 30, v1
	v_lshlrev_b32_e32 v2, 2, v2
	v_cndmask_b32_e64 v6, 0, 1, vcc_lo
	ds_bpermute_b32 v5, v2, v3
	s_waitcnt lgkmcnt(0)
	v_dual_add_f32 v7, v3, v5 :: v_dual_and_b32 v4, 0x3e0, v0
	s_delay_alu instid0(VALU_DEP_1) | instskip(SKIP_1) | instid1(VALU_DEP_1)
	v_sub_nc_u32_e64 v12, s11, v4 clamp
	v_add_nc_u32_e32 v4, 1, v1
	v_cmp_lt_u32_e32 vcc_lo, v4, v12
	s_delay_alu instid0(VALU_DEP_4) | instskip(SKIP_2) | instid1(VALU_DEP_1)
	v_cndmask_b32_e32 v7, v3, v7, vcc_lo
	v_cmp_gt_u32_e32 vcc_lo, 28, v1
	v_cndmask_b32_e64 v3, 0, 1, vcc_lo
	v_lshlrev_b32_e32 v8, 2, v3
	v_add_nc_u32_e32 v3, 2, v1
	s_delay_alu instid0(VALU_DEP_1) | instskip(SKIP_1) | instid1(VALU_DEP_1)
	v_cmp_lt_u32_e32 vcc_lo, v3, v12
	v_lshlrev_b32_e32 v6, 1, v6
	v_add_lshl_u32 v5, v6, v1, 2
	ds_bpermute_b32 v6, v5, v7
	s_waitcnt lgkmcnt(0)
	v_add_f32_e32 v9, v7, v6
	v_add_lshl_u32 v6, v8, v1, 2
	s_delay_alu instid0(VALU_DEP_2) | instskip(SKIP_3) | instid1(VALU_DEP_1)
	v_cndmask_b32_e32 v9, v7, v9, vcc_lo
	v_cmp_gt_u32_e32 vcc_lo, 24, v1
	ds_bpermute_b32 v8, v6, v9
	v_cndmask_b32_e64 v7, 0, 1, vcc_lo
	v_lshlrev_b32_e32 v10, 3, v7
	v_add_nc_u32_e32 v7, 4, v1
	s_delay_alu instid0(VALU_DEP_1) | instskip(SKIP_3) | instid1(VALU_DEP_2)
	v_cmp_lt_u32_e32 vcc_lo, v7, v12
	s_waitcnt lgkmcnt(0)
	v_add_f32_e32 v11, v9, v8
	v_add_lshl_u32 v8, v10, v1, 2
	v_cndmask_b32_e32 v11, v9, v11, vcc_lo
	v_cmp_gt_u32_e32 vcc_lo, 16, v1
	ds_bpermute_b32 v10, v8, v11
	v_cndmask_b32_e64 v9, 0, 1, vcc_lo
	s_delay_alu instid0(VALU_DEP_1) | instskip(SKIP_1) | instid1(VALU_DEP_1)
	v_lshlrev_b32_e32 v13, 4, v9
	v_add_nc_u32_e32 v9, 8, v1
	v_cmp_lt_u32_e32 vcc_lo, v9, v12
	s_waitcnt lgkmcnt(0)
	v_add_f32_e32 v14, v11, v10
	v_add_lshl_u32 v10, v13, v1, 2
	s_delay_alu instid0(VALU_DEP_2)
	v_cndmask_b32_e32 v13, v11, v14, vcc_lo
	v_add_nc_u32_e32 v11, 16, v1
	ds_bpermute_b32 v14, v10, v13
	v_cmp_lt_u32_e32 vcc_lo, v11, v12
	s_waitcnt lgkmcnt(0)
	v_add_f32_e32 v14, v13, v14
	s_delay_alu instid0(VALU_DEP_1)
	v_cndmask_b32_e32 v12, v13, v14, vcc_lo
	v_cmpx_eq_u32_e32 0, v1
	s_cbranch_execz .LBB4_14
; %bb.13:
	v_lshrrev_b32_e32 v13, 3, v0
	s_delay_alu instid0(VALU_DEP_1)
	v_and_b32_e32 v13, 0x7c, v13
	ds_store_b32 v13, v12
.LBB4_14:
	s_or_b32 exec_lo, exec_lo, s2
	s_delay_alu instid0(SALU_CYCLE_1)
	s_mov_b32 s2, exec_lo
	s_waitcnt lgkmcnt(0)
	s_barrier
	buffer_gl0_inv
	v_cmpx_gt_u32_e32 32, v0
	s_cbranch_execz .LBB4_16
; %bb.15:
	v_lshlrev_b32_e32 v1, 2, v1
	s_add_i32 s3, s11, 31
	s_delay_alu instid0(SALU_CYCLE_1) | instskip(NEXT) | instid1(SALU_CYCLE_1)
	s_lshr_b32 s3, s3, 5
	v_cmp_gt_u32_e32 vcc_lo, s3, v4
	ds_load_b32 v1, v1
	s_waitcnt lgkmcnt(0)
	ds_bpermute_b32 v2, v2, v1
	s_waitcnt lgkmcnt(0)
	v_add_f32_e32 v2, v1, v2
	s_delay_alu instid0(VALU_DEP_1) | instskip(SKIP_4) | instid1(VALU_DEP_1)
	v_cndmask_b32_e32 v1, v1, v2, vcc_lo
	v_cmp_gt_u32_e32 vcc_lo, s3, v3
	ds_bpermute_b32 v2, v5, v1
	s_waitcnt lgkmcnt(0)
	v_add_f32_e32 v2, v1, v2
	v_cndmask_b32_e32 v1, v1, v2, vcc_lo
	v_cmp_gt_u32_e32 vcc_lo, s3, v7
	ds_bpermute_b32 v2, v6, v1
	s_waitcnt lgkmcnt(0)
	v_add_f32_e32 v2, v1, v2
	s_delay_alu instid0(VALU_DEP_1) | instskip(SKIP_4) | instid1(VALU_DEP_1)
	v_cndmask_b32_e32 v1, v1, v2, vcc_lo
	v_cmp_gt_u32_e32 vcc_lo, s3, v9
	ds_bpermute_b32 v2, v8, v1
	s_waitcnt lgkmcnt(0)
	v_add_f32_e32 v2, v1, v2
	v_cndmask_b32_e32 v1, v1, v2, vcc_lo
	v_cmp_gt_u32_e32 vcc_lo, s3, v11
	ds_bpermute_b32 v2, v10, v1
	s_waitcnt lgkmcnt(0)
	v_add_f32_e32 v2, v1, v2
	s_delay_alu instid0(VALU_DEP_1)
	v_cndmask_b32_e32 v12, v1, v2, vcc_lo
.LBB4_16:
	s_or_b32 exec_lo, exec_lo, s2
	s_delay_alu instid0(SALU_CYCLE_1)
	s_mov_b32 s2, exec_lo
	v_cmpx_eq_u32_e32 0, v0
	s_cbranch_execz .LBB4_18
; %bb.17:
	v_cvt_f32_i32_e32 v1, s8
	s_load_b32 s3, s[0:1], 0x28
	s_delay_alu instid0(VALU_DEP_1) | instskip(SKIP_1) | instid1(VALU_DEP_2)
	v_div_scale_f32 v2, null, v1, v1, v12
	v_div_scale_f32 v5, vcc_lo, v12, v1, v12
	v_rcp_f32_e32 v3, v2
	s_waitcnt_depctr 0xfff
	v_fma_f32 v4, -v2, v3, 1.0
	s_delay_alu instid0(VALU_DEP_1) | instskip(NEXT) | instid1(VALU_DEP_1)
	v_fmac_f32_e32 v3, v4, v3
	v_mul_f32_e32 v4, v5, v3
	s_delay_alu instid0(VALU_DEP_1) | instskip(NEXT) | instid1(VALU_DEP_1)
	v_fma_f32 v6, -v2, v4, v5
	v_fmac_f32_e32 v4, v6, v3
	s_delay_alu instid0(VALU_DEP_1) | instskip(NEXT) | instid1(VALU_DEP_1)
	v_fma_f32 v2, -v2, v4, v5
	v_div_fmas_f32 v2, v2, v3, v4
	s_delay_alu instid0(VALU_DEP_1) | instskip(SKIP_1) | instid1(VALU_DEP_1)
	v_div_fixup_f32 v1, v2, v1, v12
	s_waitcnt lgkmcnt(0)
	v_add_f32_e32 v1, s3, v1
	s_delay_alu instid0(VALU_DEP_1) | instskip(SKIP_1) | instid1(VALU_DEP_2)
	v_mul_f32_e32 v2, 0x4b800000, v1
	v_cmp_gt_f32_e32 vcc_lo, 0x800000, v1
	v_cndmask_b32_e32 v1, v1, v2, vcc_lo
	s_delay_alu instid0(VALU_DEP_1) | instskip(SKIP_2) | instid1(VALU_DEP_1)
	v_rsq_f32_e32 v1, v1
	s_waitcnt_depctr 0xfff
	v_mul_f32_e32 v2, 0x45800000, v1
	v_dual_cndmask_b32 v1, v1, v2 :: v_dual_mov_b32 v2, 0
	ds_store_b32 v2, v1 offset:128
.LBB4_18:
	s_or_b32 exec_lo, exec_lo, s2
	s_waitcnt lgkmcnt(0)
	s_barrier
	buffer_gl0_inv
	s_mov_b32 s2, exec_lo
	v_cmpx_gt_i32_e64 s8, v0
	s_cbranch_execz .LBB4_37
; %bb.19:
	s_clause 0x1
	s_load_b128 s[4:7], s[0:1], 0x18
	s_load_b64 s[2:3], s[0:1], 0x0
	s_mul_i32 s15, s15, s8
	s_waitcnt lgkmcnt(0)
	s_load_b32 s6, s[6:7], 0x0
	s_mov_b32 s7, 0x43e00000
	s_waitcnt lgkmcnt(0)
	v_div_scale_f32 v1, null, s6, s6, 1.0
	v_div_scale_f32 v4, vcc_lo, 1.0, s6, 1.0
	s_delay_alu instid0(VALU_DEP_2) | instskip(SKIP_2) | instid1(VALU_DEP_1)
	v_rcp_f32_e32 v3, v1
	s_waitcnt_depctr 0xfff
	v_fma_f32 v2, -v1, v3, 1.0
	v_dual_fmac_f32 v3, v2, v3 :: v_dual_mov_b32 v2, 0
	s_delay_alu instid0(VALU_DEP_1) | instskip(NEXT) | instid1(VALU_DEP_1)
	v_mul_f32_e32 v6, v4, v3
	v_fma_f32 v5, -v1, v6, v4
	s_delay_alu instid0(VALU_DEP_1) | instskip(SKIP_2) | instid1(VALU_DEP_1)
	v_fmac_f32_e32 v6, v5, v3
	ds_load_b32 v5, v2 offset:128
	v_fma_f32 v1, -v1, v6, v4
	v_div_fmas_f32 v1, v1, v3, v6
	s_delay_alu instid0(VALU_DEP_1)
	v_div_fixup_f32 v6, v1, s6, 1.0
	s_mov_b32 s6, 0
	s_branch .LBB4_21
.LBB4_20:                               ;   in Loop: Header=BB4_21 Depth=1
	s_or_b32 exec_lo, exec_lo, s0
	v_add_nc_u32_e32 v1, s15, v0
	v_add_nc_u32_e32 v0, s11, v0
	global_store_b8 v1, v4, s[2:3]
	v_cmp_le_i32_e32 vcc_lo, s8, v0
	s_or_b32 s6, vcc_lo, s6
	s_delay_alu instid0(SALU_CYCLE_1)
	s_and_not1_b32 exec_lo, exec_lo, s6
	s_cbranch_execz .LBB4_37
.LBB4_21:                               ; =>This Inner Loop Header: Depth=1
	v_ashrrev_i32_e32 v1, 31, v0
	s_mov_b32 s0, exec_lo
	v_mov_b32_e32 v10, v2
	s_delay_alu instid0(VALU_DEP_2) | instskip(NEXT) | instid1(VALU_DEP_1)
	v_lshlrev_b64 v[3:4], 2, v[0:1]
	v_add_co_u32 v7, vcc_lo, s9, v3
	s_delay_alu instid0(VALU_DEP_2)
	v_add_co_ci_u32_e32 v8, vcc_lo, s10, v4, vcc_lo
	v_add_co_u32 v3, vcc_lo, s4, v3
	v_add_co_ci_u32_e32 v4, vcc_lo, s5, v4, vcc_lo
	global_load_b32 v1, v[7:8], off
	global_load_b32 v3, v[3:4], off
	s_waitcnt vmcnt(1) lgkmcnt(0)
	v_mul_f32_e32 v1, v1, v5
	s_waitcnt vmcnt(0)
	s_delay_alu instid0(VALU_DEP_1) | instskip(NEXT) | instid1(VALU_DEP_1)
	v_mul_f32_e32 v1, v3, v1
	v_mul_f32_e32 v1, v6, v1
	s_delay_alu instid0(VALU_DEP_1) | instskip(NEXT) | instid1(VALU_DEP_1)
	v_minmax_f32 v3, v1, s7, 0xc3e00000
	v_lshrrev_b32_e32 v8, 24, v3
	v_and_b32_e32 v9, 0x7f800000, v3
	v_and_b32_e32 v1, 0x7fffff, v3
	s_delay_alu instid0(VALU_DEP_3) | instskip(NEXT) | instid1(VALU_DEP_1)
	v_and_b32_e32 v7, 0x80, v8
	v_or_b32_e32 v4, 0x7e, v7
	s_delay_alu instid0(VALU_DEP_4)
	v_cmpx_ne_u64_e32 0x7f800000, v[9:10]
	s_xor_b32 s12, exec_lo, s0
	s_cbranch_execz .LBB4_35
; %bb.22:                               ;   in Loop: Header=BB4_21 Depth=1
	v_dual_mov_b32 v9, v2 :: v_dual_and_b32 v8, 0x7fffffff, v3
	s_mov_b32 s0, exec_lo
	s_delay_alu instid0(VALU_DEP_1)
	v_cmpx_gt_u64_e32 0x43e00001, v[8:9]
	s_xor_b32 s13, exec_lo, s0
	s_cbranch_execz .LBB4_34
; %bb.23:                               ;   in Loop: Header=BB4_21 Depth=1
	v_mov_b32_e32 v4, 0
	s_mov_b32 s14, exec_lo
	v_cmpx_ne_u32_e32 0, v3
	s_cbranch_execz .LBB4_33
; %bb.24:                               ;   in Loop: Header=BB4_21 Depth=1
	v_bfe_u32 v12, v3, 23, 8
	s_delay_alu instid0(VALU_DEP_1) | instskip(SKIP_2) | instid1(VALU_DEP_3)
	v_sub_nc_u32_e64 v3, 0x79, v12 clamp
	v_cmp_eq_u32_e32 vcc_lo, 0, v12
	v_add_nc_u32_e32 v12, 0xffffff88, v12
	v_cndmask_b32_e64 v13, v3, 0x78, vcc_lo
	v_or_b32_e32 v3, 0x800000, v1
	s_delay_alu instid0(VALU_DEP_2) | instskip(NEXT) | instid1(VALU_DEP_2)
	v_add_nc_u32_e32 v4, 20, v13
	v_cndmask_b32_e32 v1, v3, v1, vcc_lo
	v_add_nc_u32_e32 v8, 19, v13
	s_delay_alu instid0(VALU_DEP_3) | instskip(NEXT) | instid1(VALU_DEP_3)
	v_lshlrev_b64 v[3:4], v4, -1
	v_lshrrev_b64 v[10:11], v13, v[1:2]
	s_delay_alu instid0(VALU_DEP_2) | instskip(NEXT) | instid1(VALU_DEP_3)
	v_not_b32_e32 v9, v4
	v_not_b32_e32 v14, v3
	v_lshlrev_b64 v[3:4], v8, 1
	s_delay_alu instid0(VALU_DEP_3) | instskip(NEXT) | instid1(VALU_DEP_3)
	v_and_b32_e32 v9, 0, v9
	v_and_b32_e32 v8, v1, v14
	;; [unrolled: 1-line block ×3, first 2 shown]
	s_delay_alu instid0(VALU_DEP_2) | instskip(NEXT) | instid1(VALU_DEP_2)
	v_cmp_eq_u64_e64 s0, v[8:9], v[3:4]
	v_cmp_eq_u64_e64 s1, 0, v[1:2]
	v_cndmask_b32_e64 v1, v12, 0xffffff89, vcc_lo
	v_lshrrev_b32_e32 v3, 23, v10
	s_delay_alu instid0(VALU_DEP_3) | instskip(NEXT) | instid1(VALU_DEP_1)
	s_and_b32 vcc_lo, s1, s0
	v_add3_u32 v8, v1, v13, v3
	v_subrev_co_ci_u32_e32 v4, vcc_lo, 0, v10, vcc_lo
	s_mov_b32 s0, exec_lo
	s_delay_alu instid0(VALU_DEP_2) | instskip(NEXT) | instid1(VALU_DEP_2)
	v_add_nc_u32_e32 v9, -1, v8
	v_and_b32_e32 v1, 0xfffff, v4
	s_delay_alu instid0(VALU_DEP_1) | instskip(SKIP_1) | instid1(VALU_DEP_4)
	v_add_co_u32 v3, vcc_lo, v1, v10
	v_add_co_ci_u32_e32 v4, vcc_lo, 0, v11, vcc_lo
                                        ; implicit-def: $vgpr1
	v_cmpx_ne_u32_e32 0, v9
	s_xor_b32 s0, exec_lo, s0
; %bb.25:                               ;   in Loop: Header=BB4_21 Depth=1
	s_delay_alu instid0(VALU_DEP_3) | instskip(SKIP_1) | instid1(VALU_DEP_2)
	v_and_b32_e32 v1, 0x1000000, v3
	v_bfe_u32 v10, v3, 24, 1
	v_cmp_eq_u64_e32 vcc_lo, 0, v[1:2]
	s_delay_alu instid0(VALU_DEP_2)
	v_lshrrev_b64 v[3:4], v10, v[3:4]
	v_cndmask_b32_e32 v1, v8, v9, vcc_lo
; %bb.26:                               ;   in Loop: Header=BB4_21 Depth=1
	s_and_not1_saveexec_b32 s0, s0
; %bb.27:                               ;   in Loop: Header=BB4_21 Depth=1
	s_delay_alu instid0(VALU_DEP_2)
	v_bfe_u32 v1, v3, 23, 1
; %bb.28:                               ;   in Loop: Header=BB4_21 Depth=1
	s_or_b32 exec_lo, exec_lo, s0
	s_delay_alu instid0(VALU_DEP_3) | instskip(NEXT) | instid1(VALU_DEP_2)
	v_lshrrev_b64 v[3:4], 20, v[3:4]
	v_cmp_gt_i32_e32 vcc_lo, 16, v1
	v_cmp_ne_u32_e64 s0, 0, v1
	s_delay_alu instid0(VALU_DEP_3) | instskip(NEXT) | instid1(VALU_DEP_1)
	v_dual_cndmask_b32 v4, 0, v4 :: v_dual_cndmask_b32 v3, 7, v3
	v_cmp_ne_u64_e32 vcc_lo, 0, v[3:4]
                                        ; implicit-def: $vgpr4
	s_delay_alu instid0(VALU_DEP_3) | instskip(NEXT) | instid1(SALU_CYCLE_1)
	s_or_b32 s0, s0, vcc_lo
	s_and_saveexec_b32 s1, s0
	s_delay_alu instid0(SALU_CYCLE_1)
	s_xor_b32 s0, exec_lo, s1
; %bb.29:                               ;   in Loop: Header=BB4_21 Depth=1
	v_min_i32_e32 v1, 15, v1
	s_delay_alu instid0(VALU_DEP_1) | instskip(NEXT) | instid1(VALU_DEP_1)
	v_lshl_or_b32 v1, v1, 3, v7
                                        ; implicit-def: $vgpr7
	v_and_or_b32 v4, v3, 7, v1
; %bb.30:                               ;   in Loop: Header=BB4_21 Depth=1
	s_and_not1_saveexec_b32 s0, s0
; %bb.31:                               ;   in Loop: Header=BB4_21 Depth=1
	v_mov_b32_e32 v4, v7
; %bb.32:                               ;   in Loop: Header=BB4_21 Depth=1
	s_or_b32 exec_lo, exec_lo, s0
.LBB4_33:                               ;   in Loop: Header=BB4_21 Depth=1
	s_delay_alu instid0(SALU_CYCLE_1)
	s_or_b32 exec_lo, exec_lo, s14
.LBB4_34:                               ;   in Loop: Header=BB4_21 Depth=1
	s_and_not1_saveexec_b32 s0, s13
	s_delay_alu instid0(SALU_CYCLE_1)
	s_or_b32 exec_lo, exec_lo, s0
                                        ; implicit-def: $vgpr8
.LBB4_35:                               ;   in Loop: Header=BB4_21 Depth=1
	s_and_not1_saveexec_b32 s0, s12
	s_cbranch_execz .LBB4_20
; %bb.36:                               ;   in Loop: Header=BB4_21 Depth=1
	v_cmp_eq_u64_e32 vcc_lo, 0, v[1:2]
	v_or_b32_e32 v3, 0x7f, v8
	s_delay_alu instid0(VALU_DEP_1)
	v_cndmask_b32_e32 v4, v3, v4, vcc_lo
	s_branch .LBB4_20
.LBB4_37:
	s_nop 0
	s_sendmsg sendmsg(MSG_DEALLOC_VGPRS)
	s_endpgm
	.section	.rodata,"a",@progbits
	.p2align	6, 0x0
	.amdhsa_kernel _ZN4vllm32rms_norm_static_fp8_quant_kernelIfN3c1013Float8_e4m3fnELi1EEEvPT0_PKT_iS7_PKffii
		.amdhsa_group_segment_fixed_size 132
		.amdhsa_private_segment_fixed_size 0
		.amdhsa_kernarg_size 312
		.amdhsa_user_sgpr_count 15
		.amdhsa_user_sgpr_dispatch_ptr 0
		.amdhsa_user_sgpr_queue_ptr 0
		.amdhsa_user_sgpr_kernarg_segment_ptr 1
		.amdhsa_user_sgpr_dispatch_id 0
		.amdhsa_user_sgpr_private_segment_size 0
		.amdhsa_wavefront_size32 1
		.amdhsa_uses_dynamic_stack 0
		.amdhsa_enable_private_segment 0
		.amdhsa_system_sgpr_workgroup_id_x 1
		.amdhsa_system_sgpr_workgroup_id_y 0
		.amdhsa_system_sgpr_workgroup_id_z 0
		.amdhsa_system_sgpr_workgroup_info 0
		.amdhsa_system_vgpr_workitem_id 0
		.amdhsa_next_free_vgpr 15
		.amdhsa_next_free_sgpr 17
		.amdhsa_reserve_vcc 1
		.amdhsa_float_round_mode_32 0
		.amdhsa_float_round_mode_16_64 0
		.amdhsa_float_denorm_mode_32 3
		.amdhsa_float_denorm_mode_16_64 3
		.amdhsa_dx10_clamp 1
		.amdhsa_ieee_mode 1
		.amdhsa_fp16_overflow 0
		.amdhsa_workgroup_processor_mode 1
		.amdhsa_memory_ordered 1
		.amdhsa_forward_progress 0
		.amdhsa_shared_vgpr_count 0
		.amdhsa_exception_fp_ieee_invalid_op 0
		.amdhsa_exception_fp_denorm_src 0
		.amdhsa_exception_fp_ieee_div_zero 0
		.amdhsa_exception_fp_ieee_overflow 0
		.amdhsa_exception_fp_ieee_underflow 0
		.amdhsa_exception_fp_ieee_inexact 0
		.amdhsa_exception_int_div_zero 0
	.end_amdhsa_kernel
	.section	.text._ZN4vllm32rms_norm_static_fp8_quant_kernelIfN3c1013Float8_e4m3fnELi1EEEvPT0_PKT_iS7_PKffii,"axG",@progbits,_ZN4vllm32rms_norm_static_fp8_quant_kernelIfN3c1013Float8_e4m3fnELi1EEEvPT0_PKT_iS7_PKffii,comdat
.Lfunc_end4:
	.size	_ZN4vllm32rms_norm_static_fp8_quant_kernelIfN3c1013Float8_e4m3fnELi1EEEvPT0_PKT_iS7_PKffii, .Lfunc_end4-_ZN4vllm32rms_norm_static_fp8_quant_kernelIfN3c1013Float8_e4m3fnELi1EEEvPT0_PKT_iS7_PKffii
                                        ; -- End function
	.section	.AMDGPU.csdata,"",@progbits
; Kernel info:
; codeLenInByte = 2048
; NumSgprs: 19
; NumVgprs: 15
; ScratchSize: 0
; MemoryBound: 0
; FloatMode: 240
; IeeeMode: 1
; LDSByteSize: 132 bytes/workgroup (compile time only)
; SGPRBlocks: 2
; VGPRBlocks: 1
; NumSGPRsForWavesPerEU: 19
; NumVGPRsForWavesPerEU: 15
; Occupancy: 16
; WaveLimiterHint : 0
; COMPUTE_PGM_RSRC2:SCRATCH_EN: 0
; COMPUTE_PGM_RSRC2:USER_SGPR: 15
; COMPUTE_PGM_RSRC2:TRAP_HANDLER: 0
; COMPUTE_PGM_RSRC2:TGID_X_EN: 1
; COMPUTE_PGM_RSRC2:TGID_Y_EN: 0
; COMPUTE_PGM_RSRC2:TGID_Z_EN: 0
; COMPUTE_PGM_RSRC2:TIDIG_COMP_CNT: 0
	.section	.text._ZN4vllm32rms_norm_static_fp8_quant_kernelIfN3c1015Float8_e4m3fnuzELi16EEEvPT0_PKT_iS7_PKffii,"axG",@progbits,_ZN4vllm32rms_norm_static_fp8_quant_kernelIfN3c1015Float8_e4m3fnuzELi16EEEvPT0_PKT_iS7_PKffii,comdat
	.protected	_ZN4vllm32rms_norm_static_fp8_quant_kernelIfN3c1015Float8_e4m3fnuzELi16EEEvPT0_PKT_iS7_PKffii ; -- Begin function _ZN4vllm32rms_norm_static_fp8_quant_kernelIfN3c1015Float8_e4m3fnuzELi16EEEvPT0_PKT_iS7_PKffii
	.globl	_ZN4vllm32rms_norm_static_fp8_quant_kernelIfN3c1015Float8_e4m3fnuzELi16EEEvPT0_PKT_iS7_PKffii
	.p2align	8
	.type	_ZN4vllm32rms_norm_static_fp8_quant_kernelIfN3c1015Float8_e4m3fnuzELi16EEEvPT0_PKT_iS7_PKffii,@function
_ZN4vllm32rms_norm_static_fp8_quant_kernelIfN3c1015Float8_e4m3fnuzELi16EEEvPT0_PKT_iS7_PKffii: ; @_ZN4vllm32rms_norm_static_fp8_quant_kernelIfN3c1015Float8_e4m3fnuzELi16EEEvPT0_PKT_iS7_PKffii
; %bb.0:
	s_clause 0x3
	s_load_b32 s2, s[0:1], 0x10
	s_load_b64 s[4:5], s[0:1], 0x8
	s_load_b32 s8, s[0:1], 0x44
	s_load_b32 s13, s[0:1], 0x30
	s_mov_b32 s3, 0
	s_waitcnt lgkmcnt(0)
	s_mul_i32 s2, s15, s2
	s_delay_alu instid0(SALU_CYCLE_1) | instskip(NEXT) | instid1(SALU_CYCLE_1)
	s_lshl_b64 s[6:7], s[2:3], 2
	s_add_u32 s10, s4, s6
	s_addc_u32 s11, s5, s7
	s_and_b32 s2, s10, 63
	s_and_b32 s12, s8, 0xffff
	s_cmp_lg_u64 s[2:3], 0
	s_cselect_b32 s2, -1, 0
	s_and_b32 s3, s13, 15
	s_delay_alu instid0(SALU_CYCLE_1) | instskip(SKIP_1) | instid1(SALU_CYCLE_1)
	s_cmp_lg_u32 s3, 0
	s_cselect_b32 s3, -1, 0
	s_or_b32 s2, s2, s3
	s_delay_alu instid0(SALU_CYCLE_1)
	s_and_b32 vcc_lo, exec_lo, s2
	s_cbranch_vccz .LBB5_14
; %bb.1:
	s_sub_i32 s2, 0, s10
	v_mov_b32_e32 v4, 0
	s_bfe_u32 s2, s2, 0x40002
	s_mov_b32 s3, exec_lo
	s_min_i32 s8, s2, s13
	s_delay_alu instid0(SALU_CYCLE_1)
	v_cmpx_gt_i32_e64 s8, v0
	s_cbranch_execz .LBB5_5
; %bb.2:
	v_dual_mov_b32 v4, 0 :: v_dual_lshlrev_b32 v1, 2, v0
	s_add_u32 s2, s4, s6
	s_addc_u32 s9, s5, s7
	v_mov_b32_e32 v3, v0
	s_delay_alu instid0(VALU_DEP_2) | instskip(NEXT) | instid1(VALU_DEP_1)
	v_add_co_u32 v1, s2, s2, v1
	v_add_co_ci_u32_e64 v2, null, s9, 0, s2
	s_mov_b32 s9, 0
	s_lshl_b32 s14, s12, 2
.LBB5_3:                                ; =>This Inner Loop Header: Depth=1
	global_load_b32 v5, v[1:2], off
	v_add_nc_u32_e32 v3, s12, v3
	v_add_co_u32 v1, vcc_lo, v1, s14
	v_add_co_ci_u32_e32 v2, vcc_lo, 0, v2, vcc_lo
	s_waitcnt vmcnt(0)
	v_fmac_f32_e32 v4, v5, v5
	v_cmp_le_i32_e64 s2, s8, v3
	s_delay_alu instid0(VALU_DEP_1) | instskip(NEXT) | instid1(SALU_CYCLE_1)
	s_or_b32 s9, s2, s9
	s_and_not1_b32 exec_lo, exec_lo, s9
	s_cbranch_execnz .LBB5_3
; %bb.4:
	s_or_b32 exec_lo, exec_lo, s9
.LBB5_5:
	s_delay_alu instid0(SALU_CYCLE_1)
	s_or_b32 exec_lo, exec_lo, s3
	s_sub_i32 s3, s13, s8
	s_ashr_i32 s9, s8, 31
	s_ashr_i32 s2, s3, 31
	s_mov_b32 s16, exec_lo
	s_lshr_b32 s2, s2, 28
	s_delay_alu instid0(SALU_CYCLE_1) | instskip(NEXT) | instid1(SALU_CYCLE_1)
	s_add_i32 s2, s3, s2
	s_ashr_i32 s14, s2, 4
	s_delay_alu instid0(SALU_CYCLE_1)
	v_cmpx_gt_i32_e64 s14, v0
	s_cbranch_execz .LBB5_9
; %bb.6:
	v_lshlrev_b32_e32 v1, 6, v0
	s_lshl_b64 s[18:19], s[8:9], 2
	s_add_u32 s2, s4, s6
	s_addc_u32 s17, s5, s7
	s_add_u32 s2, s2, s18
	s_addc_u32 s17, s17, s19
	v_add_co_u32 v1, s2, s2, v1
	s_delay_alu instid0(VALU_DEP_1)
	v_add_co_ci_u32_e64 v2, null, s17, 0, s2
	v_mov_b32_e32 v3, v0
	s_mov_b32 s17, 0
	s_lshl_b32 s18, s12, 6
	s_set_inst_prefetch_distance 0x1
	.p2align	6
.LBB5_7:                                ; =>This Inner Loop Header: Depth=1
	s_clause 0x3
	global_load_b128 v[5:8], v[1:2], off
	global_load_b128 v[9:12], v[1:2], off offset:16
	global_load_b128 v[13:16], v[1:2], off offset:32
	;; [unrolled: 1-line block ×3, first 2 shown]
	v_add_co_u32 v1, vcc_lo, v1, s18
	v_add_co_ci_u32_e32 v2, vcc_lo, 0, v2, vcc_lo
	v_add_nc_u32_e32 v3, s12, v3
	s_delay_alu instid0(VALU_DEP_1) | instskip(NEXT) | instid1(VALU_DEP_1)
	v_cmp_le_i32_e64 s2, s14, v3
	s_or_b32 s17, s2, s17
	s_waitcnt vmcnt(3)
	v_fmac_f32_e32 v4, v5, v5
	s_delay_alu instid0(VALU_DEP_1) | instskip(NEXT) | instid1(VALU_DEP_1)
	v_fmac_f32_e32 v4, v6, v6
	v_fmac_f32_e32 v4, v7, v7
	s_delay_alu instid0(VALU_DEP_1) | instskip(SKIP_1) | instid1(VALU_DEP_1)
	v_fmac_f32_e32 v4, v8, v8
	s_waitcnt vmcnt(2)
	v_fmac_f32_e32 v4, v9, v9
	s_delay_alu instid0(VALU_DEP_1) | instskip(NEXT) | instid1(VALU_DEP_1)
	v_fmac_f32_e32 v4, v10, v10
	v_fmac_f32_e32 v4, v11, v11
	s_delay_alu instid0(VALU_DEP_1) | instskip(SKIP_1) | instid1(VALU_DEP_1)
	v_fmac_f32_e32 v4, v12, v12
	;; [unrolled: 7-line block ×3, first 2 shown]
	s_waitcnt vmcnt(0)
	v_fmac_f32_e32 v4, v17, v17
	s_delay_alu instid0(VALU_DEP_1) | instskip(NEXT) | instid1(VALU_DEP_1)
	v_fmac_f32_e32 v4, v18, v18
	v_fmac_f32_e32 v4, v19, v19
	s_delay_alu instid0(VALU_DEP_1)
	v_fmac_f32_e32 v4, v20, v20
	s_and_not1_b32 exec_lo, exec_lo, s17
	s_cbranch_execnz .LBB5_7
; %bb.8:
	s_set_inst_prefetch_distance 0x2
	s_or_b32 exec_lo, exec_lo, s17
.LBB5_9:
	s_delay_alu instid0(SALU_CYCLE_1) | instskip(SKIP_2) | instid1(VALU_DEP_1)
	s_or_b32 exec_lo, exec_lo, s16
	v_lshl_add_u32 v1, s14, 4, v0
	s_mov_b32 s14, exec_lo
	v_cmpx_gt_i32_e64 s3, v1
	s_cbranch_execz .LBB5_13
; %bb.10:
	v_ashrrev_i32_e32 v2, 31, v1
	s_lshl_b64 s[8:9], s[8:9], 2
	s_add_u32 s2, s4, s6
	s_addc_u32 s16, s5, s7
	s_add_u32 s2, s2, s8
	v_lshlrev_b64 v[2:3], 2, v[1:2]
	s_addc_u32 s8, s16, s9
	s_lshl_b32 s9, s12, 2
	s_delay_alu instid0(VALU_DEP_1) | instskip(NEXT) | instid1(VALU_DEP_2)
	v_add_co_u32 v2, vcc_lo, s2, v2
	v_add_co_ci_u32_e32 v3, vcc_lo, s8, v3, vcc_lo
	s_mov_b32 s8, 0
.LBB5_11:                               ; =>This Inner Loop Header: Depth=1
	global_load_b32 v5, v[2:3], off
	v_add_nc_u32_e32 v1, s12, v1
	v_add_co_u32 v2, vcc_lo, v2, s9
	v_add_co_ci_u32_e32 v3, vcc_lo, 0, v3, vcc_lo
	s_delay_alu instid0(VALU_DEP_3) | instskip(NEXT) | instid1(VALU_DEP_1)
	v_cmp_le_i32_e64 s2, s3, v1
	s_or_b32 s8, s2, s8
	s_waitcnt vmcnt(0)
	v_fmac_f32_e32 v4, v5, v5
	s_and_not1_b32 exec_lo, exec_lo, s8
	s_cbranch_execnz .LBB5_11
; %bb.12:
	s_or_b32 exec_lo, exec_lo, s8
.LBB5_13:
	s_delay_alu instid0(SALU_CYCLE_1)
	s_or_b32 exec_lo, exec_lo, s14
	s_branch .LBB5_20
.LBB5_14:
                                        ; implicit-def: $vgpr4
	s_cbranch_execz .LBB5_20
; %bb.15:
	v_mov_b32_e32 v4, 0
	s_ashr_i32 s8, s13, 4
	s_mov_b32 s3, exec_lo
	v_cmpx_gt_i32_e64 s8, v0
	s_cbranch_execz .LBB5_19
; %bb.16:
	v_dual_mov_b32 v4, 0 :: v_dual_lshlrev_b32 v1, 6, v0
	s_add_u32 s2, s4, s6
	s_addc_u32 s4, s5, s7
	v_mov_b32_e32 v3, v0
	s_delay_alu instid0(VALU_DEP_2) | instskip(NEXT) | instid1(VALU_DEP_1)
	v_add_co_u32 v1, s2, s2, v1
	v_add_co_ci_u32_e64 v2, null, s4, 0, s2
	s_mov_b32 s4, 0
	s_lshl_b32 s5, s12, 6
	s_set_inst_prefetch_distance 0x1
	.p2align	6
.LBB5_17:                               ; =>This Inner Loop Header: Depth=1
	s_clause 0x3
	global_load_b128 v[5:8], v[1:2], off
	global_load_b128 v[9:12], v[1:2], off offset:16
	global_load_b128 v[13:16], v[1:2], off offset:32
	;; [unrolled: 1-line block ×3, first 2 shown]
	v_add_co_u32 v1, vcc_lo, v1, s5
	v_add_co_ci_u32_e32 v2, vcc_lo, 0, v2, vcc_lo
	v_add_nc_u32_e32 v3, s12, v3
	s_delay_alu instid0(VALU_DEP_1) | instskip(NEXT) | instid1(VALU_DEP_1)
	v_cmp_le_i32_e64 s2, s8, v3
	s_or_b32 s4, s2, s4
	s_waitcnt vmcnt(3)
	v_fmac_f32_e32 v4, v5, v5
	s_delay_alu instid0(VALU_DEP_1) | instskip(NEXT) | instid1(VALU_DEP_1)
	v_fmac_f32_e32 v4, v6, v6
	v_fmac_f32_e32 v4, v7, v7
	s_delay_alu instid0(VALU_DEP_1) | instskip(SKIP_1) | instid1(VALU_DEP_1)
	v_fmac_f32_e32 v4, v8, v8
	s_waitcnt vmcnt(2)
	v_fmac_f32_e32 v4, v9, v9
	s_delay_alu instid0(VALU_DEP_1) | instskip(NEXT) | instid1(VALU_DEP_1)
	v_fmac_f32_e32 v4, v10, v10
	v_fmac_f32_e32 v4, v11, v11
	s_delay_alu instid0(VALU_DEP_1) | instskip(SKIP_1) | instid1(VALU_DEP_1)
	v_fmac_f32_e32 v4, v12, v12
	;; [unrolled: 7-line block ×3, first 2 shown]
	s_waitcnt vmcnt(0)
	v_fmac_f32_e32 v4, v17, v17
	s_delay_alu instid0(VALU_DEP_1) | instskip(NEXT) | instid1(VALU_DEP_1)
	v_fmac_f32_e32 v4, v18, v18
	v_fmac_f32_e32 v4, v19, v19
	s_delay_alu instid0(VALU_DEP_1)
	v_fmac_f32_e32 v4, v20, v20
	s_and_not1_b32 exec_lo, exec_lo, s4
	s_cbranch_execnz .LBB5_17
; %bb.18:
	s_set_inst_prefetch_distance 0x2
	s_or_b32 exec_lo, exec_lo, s4
.LBB5_19:
	s_delay_alu instid0(SALU_CYCLE_1)
	s_or_b32 exec_lo, exec_lo, s3
.LBB5_20:
	v_mbcnt_lo_u32_b32 v1, -1, 0
	v_and_b32_e32 v3, 0x3e0, v0
	s_mov_b32 s2, exec_lo
	s_delay_alu instid0(VALU_DEP_2) | instskip(NEXT) | instid1(VALU_DEP_2)
	v_cmp_ne_u32_e32 vcc_lo, 31, v1
	v_sub_nc_u32_e64 v12, s12, v3 clamp
	v_add_nc_u32_e32 v3, 1, v1
	v_add_co_ci_u32_e32 v2, vcc_lo, 0, v1, vcc_lo
	v_cmp_gt_u32_e32 vcc_lo, 30, v1
	s_delay_alu instid0(VALU_DEP_2)
	v_lshlrev_b32_e32 v2, 2, v2
	v_cndmask_b32_e64 v6, 0, 1, vcc_lo
	v_cmp_lt_u32_e32 vcc_lo, v3, v12
	ds_bpermute_b32 v5, v2, v4
	s_waitcnt lgkmcnt(0)
	v_dual_add_f32 v7, v4, v5 :: v_dual_lshlrev_b32 v6, 1, v6
	s_delay_alu instid0(VALU_DEP_1) | instskip(NEXT) | instid1(VALU_DEP_2)
	v_cndmask_b32_e32 v7, v4, v7, vcc_lo
	v_add_lshl_u32 v5, v6, v1, 2
	v_cmp_gt_u32_e32 vcc_lo, 28, v1
	ds_bpermute_b32 v6, v5, v7
	v_cndmask_b32_e64 v4, 0, 1, vcc_lo
	s_delay_alu instid0(VALU_DEP_1) | instskip(SKIP_1) | instid1(VALU_DEP_1)
	v_lshlrev_b32_e32 v8, 2, v4
	v_add_nc_u32_e32 v4, 2, v1
	v_cmp_lt_u32_e32 vcc_lo, v4, v12
	s_waitcnt lgkmcnt(0)
	v_add_f32_e32 v9, v7, v6
	v_add_lshl_u32 v6, v8, v1, 2
	s_delay_alu instid0(VALU_DEP_2) | instskip(SKIP_2) | instid1(VALU_DEP_1)
	v_cndmask_b32_e32 v9, v7, v9, vcc_lo
	v_cmp_gt_u32_e32 vcc_lo, 24, v1
	v_cndmask_b32_e64 v7, 0, 1, vcc_lo
	v_lshlrev_b32_e32 v10, 3, v7
	ds_bpermute_b32 v8, v6, v9
	v_add_nc_u32_e32 v7, 4, v1
	s_delay_alu instid0(VALU_DEP_1) | instskip(SKIP_3) | instid1(VALU_DEP_2)
	v_cmp_lt_u32_e32 vcc_lo, v7, v12
	s_waitcnt lgkmcnt(0)
	v_add_f32_e32 v11, v9, v8
	v_add_lshl_u32 v8, v10, v1, 2
	v_cndmask_b32_e32 v11, v9, v11, vcc_lo
	v_cmp_gt_u32_e32 vcc_lo, 16, v1
	ds_bpermute_b32 v10, v8, v11
	v_cndmask_b32_e64 v9, 0, 1, vcc_lo
	s_delay_alu instid0(VALU_DEP_1) | instskip(SKIP_1) | instid1(VALU_DEP_1)
	v_lshlrev_b32_e32 v13, 4, v9
	v_add_nc_u32_e32 v9, 8, v1
	v_cmp_lt_u32_e32 vcc_lo, v9, v12
	s_waitcnt lgkmcnt(0)
	v_add_f32_e32 v14, v11, v10
	v_add_lshl_u32 v10, v13, v1, 2
	s_delay_alu instid0(VALU_DEP_2)
	v_cndmask_b32_e32 v13, v11, v14, vcc_lo
	v_add_nc_u32_e32 v11, 16, v1
	ds_bpermute_b32 v14, v10, v13
	v_cmp_lt_u32_e32 vcc_lo, v11, v12
	s_waitcnt lgkmcnt(0)
	v_add_f32_e32 v14, v13, v14
	s_delay_alu instid0(VALU_DEP_1)
	v_cndmask_b32_e32 v12, v13, v14, vcc_lo
	v_cmpx_eq_u32_e32 0, v1
	s_cbranch_execz .LBB5_22
; %bb.21:
	v_lshrrev_b32_e32 v13, 3, v0
	s_delay_alu instid0(VALU_DEP_1)
	v_and_b32_e32 v13, 0x7c, v13
	ds_store_b32 v13, v12
.LBB5_22:
	s_or_b32 exec_lo, exec_lo, s2
	s_delay_alu instid0(SALU_CYCLE_1)
	s_mov_b32 s2, exec_lo
	s_waitcnt lgkmcnt(0)
	s_barrier
	buffer_gl0_inv
	v_cmpx_gt_u32_e32 32, v0
	s_cbranch_execz .LBB5_24
; %bb.23:
	v_lshlrev_b32_e32 v1, 2, v1
	s_add_i32 s3, s12, 31
	s_delay_alu instid0(SALU_CYCLE_1) | instskip(NEXT) | instid1(SALU_CYCLE_1)
	s_lshr_b32 s3, s3, 5
	v_cmp_gt_u32_e32 vcc_lo, s3, v3
	ds_load_b32 v1, v1
	s_waitcnt lgkmcnt(0)
	ds_bpermute_b32 v2, v2, v1
	s_waitcnt lgkmcnt(0)
	v_add_f32_e32 v2, v1, v2
	s_delay_alu instid0(VALU_DEP_1) | instskip(SKIP_4) | instid1(VALU_DEP_1)
	v_cndmask_b32_e32 v1, v1, v2, vcc_lo
	v_cmp_gt_u32_e32 vcc_lo, s3, v4
	ds_bpermute_b32 v2, v5, v1
	s_waitcnt lgkmcnt(0)
	v_add_f32_e32 v2, v1, v2
	v_cndmask_b32_e32 v1, v1, v2, vcc_lo
	v_cmp_gt_u32_e32 vcc_lo, s3, v7
	ds_bpermute_b32 v2, v6, v1
	s_waitcnt lgkmcnt(0)
	v_add_f32_e32 v2, v1, v2
	s_delay_alu instid0(VALU_DEP_1) | instskip(SKIP_4) | instid1(VALU_DEP_1)
	v_cndmask_b32_e32 v1, v1, v2, vcc_lo
	v_cmp_gt_u32_e32 vcc_lo, s3, v9
	ds_bpermute_b32 v2, v8, v1
	s_waitcnt lgkmcnt(0)
	v_add_f32_e32 v2, v1, v2
	v_cndmask_b32_e32 v1, v1, v2, vcc_lo
	v_cmp_gt_u32_e32 vcc_lo, s3, v11
	ds_bpermute_b32 v2, v10, v1
	s_waitcnt lgkmcnt(0)
	v_add_f32_e32 v2, v1, v2
	s_delay_alu instid0(VALU_DEP_1)
	v_cndmask_b32_e32 v12, v1, v2, vcc_lo
.LBB5_24:
	s_or_b32 exec_lo, exec_lo, s2
	s_delay_alu instid0(SALU_CYCLE_1)
	s_mov_b32 s2, exec_lo
	v_cmpx_eq_u32_e32 0, v0
	s_cbranch_execz .LBB5_26
; %bb.25:
	v_cvt_f32_i32_e32 v1, s13
	s_load_b32 s3, s[0:1], 0x28
	s_delay_alu instid0(VALU_DEP_1) | instskip(SKIP_1) | instid1(VALU_DEP_2)
	v_div_scale_f32 v2, null, v1, v1, v12
	v_div_scale_f32 v5, vcc_lo, v12, v1, v12
	v_rcp_f32_e32 v3, v2
	s_waitcnt_depctr 0xfff
	v_fma_f32 v4, -v2, v3, 1.0
	s_delay_alu instid0(VALU_DEP_1) | instskip(NEXT) | instid1(VALU_DEP_1)
	v_fmac_f32_e32 v3, v4, v3
	v_mul_f32_e32 v4, v5, v3
	s_delay_alu instid0(VALU_DEP_1) | instskip(NEXT) | instid1(VALU_DEP_1)
	v_fma_f32 v6, -v2, v4, v5
	v_fmac_f32_e32 v4, v6, v3
	s_delay_alu instid0(VALU_DEP_1) | instskip(NEXT) | instid1(VALU_DEP_1)
	v_fma_f32 v2, -v2, v4, v5
	v_div_fmas_f32 v2, v2, v3, v4
	s_delay_alu instid0(VALU_DEP_1) | instskip(SKIP_1) | instid1(VALU_DEP_1)
	v_div_fixup_f32 v1, v2, v1, v12
	s_waitcnt lgkmcnt(0)
	v_add_f32_e32 v1, s3, v1
	s_delay_alu instid0(VALU_DEP_1) | instskip(SKIP_1) | instid1(VALU_DEP_2)
	v_mul_f32_e32 v2, 0x4b800000, v1
	v_cmp_gt_f32_e32 vcc_lo, 0x800000, v1
	v_cndmask_b32_e32 v1, v1, v2, vcc_lo
	s_delay_alu instid0(VALU_DEP_1) | instskip(SKIP_2) | instid1(VALU_DEP_1)
	v_rsq_f32_e32 v1, v1
	s_waitcnt_depctr 0xfff
	v_mul_f32_e32 v2, 0x45800000, v1
	v_dual_cndmask_b32 v1, v1, v2 :: v_dual_mov_b32 v2, 0
	ds_store_b32 v2, v1 offset:128
.LBB5_26:
	s_or_b32 exec_lo, exec_lo, s2
	s_ashr_i32 s2, s13, 31
	s_waitcnt lgkmcnt(0)
	s_lshr_b32 s2, s2, 28
	s_barrier
	s_add_i32 s2, s13, s2
	buffer_gl0_inv
	s_ashr_i32 s8, s2, 4
	s_mov_b32 s2, exec_lo
	v_cmpx_gt_i32_e64 s8, v0
	s_cbranch_execz .LBB5_189
; %bb.27:
	s_clause 0x1
	s_load_b128 s[4:7], s[0:1], 0x18
	s_load_b64 s[2:3], s[0:1], 0x0
	s_mul_i32 s15, s15, s13
	s_lshl_b32 s9, s12, 6
	v_lshl_add_u32 v38, v0, 4, s15
	s_mov_b32 s13, 0x43600000
	v_mov_b32_e32 v34, 0
	v_lshlrev_b32_e32 v40, 6, v0
	ds_load_b32 v37, v34 offset:128
	s_waitcnt lgkmcnt(0)
	s_load_b32 s7, s[6:7], 0x0
	s_lshl_b32 s6, s12, 4
	s_waitcnt lgkmcnt(0)
	v_div_scale_f32 v1, null, s7, s7, 1.0
	v_div_scale_f32 v4, vcc_lo, 1.0, s7, 1.0
	s_delay_alu instid0(VALU_DEP_2) | instskip(SKIP_2) | instid1(VALU_DEP_1)
	v_rcp_f32_e32 v2, v1
	s_waitcnt_depctr 0xfff
	v_fma_f32 v3, -v1, v2, 1.0
	v_fmac_f32_e32 v2, v3, v2
	s_delay_alu instid0(VALU_DEP_1) | instskip(NEXT) | instid1(VALU_DEP_1)
	v_mul_f32_e32 v3, v4, v2
	v_fma_f32 v5, -v1, v3, v4
	s_delay_alu instid0(VALU_DEP_1) | instskip(NEXT) | instid1(VALU_DEP_1)
	v_fmac_f32_e32 v3, v5, v2
	v_fma_f32 v1, -v1, v3, v4
	s_delay_alu instid0(VALU_DEP_1) | instskip(NEXT) | instid1(VALU_DEP_1)
	v_div_fmas_f32 v1, v1, v2, v3
	v_div_fixup_f32 v39, v1, s7, 1.0
	s_mov_b32 s7, 0
	s_branch .LBB5_32
.LBB5_28:                               ;   in Loop: Header=BB5_32 Depth=1
	s_or_b32 exec_lo, exec_lo, s0
	s_delay_alu instid0(VALU_DEP_2) | instskip(NEXT) | instid1(VALU_DEP_2)
	v_lshrrev_b64 v[1:2], 20, v[1:2]
	v_cmp_gt_i32_e32 vcc_lo, 16, v4
	v_and_b32_e32 v3, 0x80, v3
	v_min_i32_e32 v5, 15, v4
	v_cmp_eq_u32_e64 s0, 0, v4
	v_dual_cndmask_b32 v2, 0, v2 :: v_dual_cndmask_b32 v1, 7, v1
	s_delay_alu instid0(VALU_DEP_3) | instskip(NEXT) | instid1(VALU_DEP_2)
	v_lshl_or_b32 v3, v5, 3, v3
	v_cmp_eq_u64_e32 vcc_lo, 0, v[1:2]
	s_delay_alu instid0(VALU_DEP_2)
	v_and_or_b32 v1, v1, 7, v3
	s_and_b32 s0, s0, vcc_lo
	s_delay_alu instid0(VALU_DEP_1) | instid1(SALU_CYCLE_1)
	v_cndmask_b32_e64 v1, v1, 0, s0
.LBB5_29:                               ;   in Loop: Header=BB5_32 Depth=1
	s_or_b32 exec_lo, exec_lo, s16
.LBB5_30:                               ;   in Loop: Header=BB5_32 Depth=1
	s_and_not1_saveexec_b32 s0, s15
	s_delay_alu instid0(SALU_CYCLE_1)
	s_or_b32 exec_lo, exec_lo, s0
.LBB5_31:                               ;   in Loop: Header=BB5_32 Depth=1
	s_and_not1_saveexec_b32 s0, s14
	s_delay_alu instid0(SALU_CYCLE_1)
	s_or_b32 exec_lo, exec_lo, s0
	v_add_nc_u32_e32 v0, s12, v0
	s_add_u32 s4, s4, s9
	v_add_nc_u32_e32 v2, 15, v38
	v_add_nc_u32_e32 v38, s6, v38
	s_addc_u32 s5, s5, 0
	v_cmp_le_i32_e32 vcc_lo, s8, v0
	s_add_u32 s10, s10, s9
	s_addc_u32 s11, s11, 0
	global_store_b8 v2, v1, s[2:3]
	s_or_b32 s7, vcc_lo, s7
	s_delay_alu instid0(SALU_CYCLE_1)
	s_and_not1_b32 exec_lo, exec_lo, s7
	s_cbranch_execz .LBB5_189
.LBB5_32:                               ; =>This Inner Loop Header: Depth=1
	v_add_co_u32 v5, s0, s10, v40
	s_delay_alu instid0(VALU_DEP_1) | instskip(SKIP_1) | instid1(VALU_DEP_1)
	v_add_co_ci_u32_e64 v6, null, s11, 0, s0
	v_add_co_u32 v13, s0, s4, v40
	v_add_co_ci_u32_e64 v14, null, s5, 0, s0
	global_load_b128 v[25:28], v[5:6], off
	global_load_b128 v[29:32], v[13:14], off
	global_load_b128 v[17:20], v[5:6], off offset:16
	global_load_b128 v[21:24], v[13:14], off offset:16
	s_clause 0x1
	global_load_b128 v[1:4], v[5:6], off offset:48
	global_load_b128 v[9:12], v[5:6], off offset:32
	s_clause 0x1
	global_load_b128 v[5:8], v[13:14], off offset:48
	global_load_b128 v[13:16], v[13:14], off offset:32
	s_mov_b32 s0, exec_lo
	s_waitcnt vmcnt(7)
	v_mul_f32_e32 v25, v25, v37
	s_waitcnt vmcnt(6)
	s_delay_alu instid0(VALU_DEP_1) | instskip(NEXT) | instid1(VALU_DEP_1)
	v_mul_f32_e32 v25, v25, v29
	v_mul_f32_e32 v25, v39, v25
	s_delay_alu instid0(VALU_DEP_1) | instskip(NEXT) | instid1(VALU_DEP_1)
	v_minmax_f32 v29, v25, s13, 0xc3600000
	v_lshrrev_b32_e32 v25, 24, v29
	v_and_b32_e32 v33, 0x7f800000, v29
	s_delay_alu instid0(VALU_DEP_2) | instskip(NEXT) | instid1(VALU_DEP_2)
	v_or_b32_e32 v35, 0x7f, v25
	v_cmpx_ne_u64_e32 0x7f800000, v[33:34]
	s_xor_b32 s14, exec_lo, s0
	s_cbranch_execz .LBB5_42
; %bb.33:                               ;   in Loop: Header=BB5_32 Depth=1
	v_and_b32_e32 v33, 0x7fffffff, v29
	s_mov_b32 s0, exec_lo
	s_delay_alu instid0(VALU_DEP_1)
	v_cmpx_gt_u64_e32 0x43700001, v[33:34]
	s_xor_b32 s15, exec_lo, s0
	s_cbranch_execz .LBB5_41
; %bb.34:                               ;   in Loop: Header=BB5_32 Depth=1
	v_mov_b32_e32 v35, 0
	s_mov_b32 s16, exec_lo
	v_cmpx_ne_u32_e32 0, v29
	s_cbranch_execz .LBB5_40
; %bb.35:                               ;   in Loop: Header=BB5_32 Depth=1
	v_bfe_u32 v45, v29, 23, 8
	v_and_b32_e32 v29, 0x7fffff, v29
	s_delay_alu instid0(VALU_DEP_2) | instskip(SKIP_1) | instid1(VALU_DEP_2)
	v_sub_nc_u32_e64 v33, 0x78, v45 clamp
	v_cmp_eq_u32_e32 vcc_lo, 0, v45
	v_cndmask_b32_e64 v46, v33, 0x77, vcc_lo
	s_delay_alu instid0(VALU_DEP_1) | instskip(NEXT) | instid1(VALU_DEP_1)
	v_add_nc_u32_e32 v35, 20, v46
	v_lshlrev_b64 v[35:36], v35, -1
	v_mov_b32_e32 v36, v34
	v_or_b32_e32 v33, 0x800000, v29
	s_delay_alu instid0(VALU_DEP_3) | instskip(NEXT) | instid1(VALU_DEP_2)
	v_not_b32_e32 v35, v35
	v_cndmask_b32_e32 v33, v33, v29, vcc_lo
	v_add_nc_u32_e32 v29, 19, v46
	s_delay_alu instid0(VALU_DEP_2) | instskip(NEXT) | instid1(VALU_DEP_2)
	v_lshrrev_b64 v[43:44], v46, v[33:34]
	v_lshlrev_b64 v[41:42], v29, 1
	v_and_b32_e32 v35, v33, v35
	v_add_nc_u32_e32 v29, 0xffffff89, v45
	s_delay_alu instid0(VALU_DEP_4) | instskip(NEXT) | instid1(VALU_DEP_3)
	v_and_b32_e32 v33, 0x100000, v43
	v_cmp_eq_u64_e64 s0, v[35:36], v[41:42]
	s_delay_alu instid0(VALU_DEP_3) | instskip(NEXT) | instid1(VALU_DEP_3)
	v_cndmask_b32_e64 v29, v29, 0xffffff8a, vcc_lo
	v_cmp_eq_u64_e64 s1, 0, v[33:34]
	v_lshrrev_b32_e32 v33, 23, v43
	s_delay_alu instid0(VALU_DEP_1) | instskip(NEXT) | instid1(VALU_DEP_3)
	v_add3_u32 v41, v29, v46, v33
	s_and_b32 vcc_lo, s1, s0
	s_mov_b32 s0, exec_lo
	v_subrev_co_ci_u32_e32 v35, vcc_lo, 0, v43, vcc_lo
	s_delay_alu instid0(VALU_DEP_2) | instskip(NEXT) | instid1(VALU_DEP_2)
	v_add_nc_u32_e32 v42, -1, v41
	v_and_b32_e32 v29, 0xfffff, v35
	s_delay_alu instid0(VALU_DEP_1) | instskip(SKIP_1) | instid1(VALU_DEP_4)
	v_add_co_u32 v35, vcc_lo, v29, v43
	v_add_co_ci_u32_e32 v36, vcc_lo, 0, v44, vcc_lo
                                        ; implicit-def: $vgpr29
	v_cmpx_ne_u32_e32 0, v42
	s_xor_b32 s0, exec_lo, s0
; %bb.36:                               ;   in Loop: Header=BB5_32 Depth=1
	s_delay_alu instid0(VALU_DEP_3) | instskip(SKIP_1) | instid1(VALU_DEP_2)
	v_and_b32_e32 v33, 0x1000000, v35
	v_bfe_u32 v29, v35, 24, 1
	v_cmp_eq_u64_e32 vcc_lo, 0, v[33:34]
	s_delay_alu instid0(VALU_DEP_2)
	v_lshrrev_b64 v[35:36], v29, v[35:36]
	v_cndmask_b32_e32 v29, v41, v42, vcc_lo
; %bb.37:                               ;   in Loop: Header=BB5_32 Depth=1
	s_and_not1_saveexec_b32 s0, s0
; %bb.38:                               ;   in Loop: Header=BB5_32 Depth=1
	s_delay_alu instid0(VALU_DEP_2)
	v_bfe_u32 v29, v35, 23, 1
; %bb.39:                               ;   in Loop: Header=BB5_32 Depth=1
	s_or_b32 exec_lo, exec_lo, s0
	s_delay_alu instid0(VALU_DEP_3) | instskip(NEXT) | instid1(VALU_DEP_2)
	v_lshrrev_b64 v[35:36], 20, v[35:36]
	v_cmp_gt_i32_e32 vcc_lo, 16, v29
	v_and_b32_e32 v25, 0x80, v25
	v_min_i32_e32 v33, 15, v29
	v_cmp_eq_u32_e64 s0, 0, v29
	v_dual_cndmask_b32 v36, 0, v36 :: v_dual_cndmask_b32 v35, 7, v35
	s_delay_alu instid0(VALU_DEP_3) | instskip(NEXT) | instid1(VALU_DEP_2)
	v_lshl_or_b32 v25, v33, 3, v25
	v_cmp_eq_u64_e32 vcc_lo, 0, v[35:36]
	s_delay_alu instid0(VALU_DEP_2)
	v_and_or_b32 v25, v35, 7, v25
	s_and_b32 s0, s0, vcc_lo
	s_delay_alu instid0(VALU_DEP_1) | instid1(SALU_CYCLE_1)
	v_cndmask_b32_e64 v35, v25, 0, s0
.LBB5_40:                               ;   in Loop: Header=BB5_32 Depth=1
	s_or_b32 exec_lo, exec_lo, s16
.LBB5_41:                               ;   in Loop: Header=BB5_32 Depth=1
	s_and_not1_saveexec_b32 s0, s15
	s_delay_alu instid0(SALU_CYCLE_1)
	s_or_b32 exec_lo, exec_lo, s0
.LBB5_42:                               ;   in Loop: Header=BB5_32 Depth=1
	s_and_not1_saveexec_b32 s0, s14
	s_delay_alu instid0(SALU_CYCLE_1) | instskip(SKIP_4) | instid1(VALU_DEP_1)
	s_or_b32 exec_lo, exec_lo, s0
	v_mul_f32_e32 v25, v26, v37
	global_store_b8 v38, v35, s[2:3]
	s_mov_b32 s0, exec_lo
	v_mul_f32_e32 v25, v25, v30
	v_mul_f32_e32 v25, v39, v25
	s_delay_alu instid0(VALU_DEP_1) | instskip(NEXT) | instid1(VALU_DEP_1)
	v_minmax_f32 v26, v25, s13, 0xc3600000
	v_lshrrev_b32_e32 v29, 24, v26
	v_and_b32_e32 v33, 0x7f800000, v26
	s_delay_alu instid0(VALU_DEP_2) | instskip(NEXT) | instid1(VALU_DEP_2)
	v_or_b32_e32 v25, 0x7f, v29
	v_cmpx_ne_u64_e32 0x7f800000, v[33:34]
	s_xor_b32 s14, exec_lo, s0
	s_cbranch_execz .LBB5_52
; %bb.43:                               ;   in Loop: Header=BB5_32 Depth=1
	v_and_b32_e32 v33, 0x7fffffff, v26
	s_mov_b32 s0, exec_lo
	s_delay_alu instid0(VALU_DEP_1)
	v_cmpx_gt_u64_e32 0x43700001, v[33:34]
	s_xor_b32 s15, exec_lo, s0
	s_cbranch_execz .LBB5_51
; %bb.44:                               ;   in Loop: Header=BB5_32 Depth=1
	v_mov_b32_e32 v25, 0
	s_mov_b32 s16, exec_lo
	v_cmpx_ne_u32_e32 0, v26
	s_cbranch_execz .LBB5_50
; %bb.45:                               ;   in Loop: Header=BB5_32 Depth=1
	v_bfe_u32 v30, v26, 23, 8
	v_and_b32_e32 v26, 0x7fffff, v26
	s_delay_alu instid0(VALU_DEP_2) | instskip(SKIP_2) | instid1(VALU_DEP_3)
	v_sub_nc_u32_e64 v25, 0x78, v30 clamp
	v_cmp_eq_u32_e32 vcc_lo, 0, v30
	v_add_nc_u32_e32 v30, 0xffffff89, v30
	v_cndmask_b32_e64 v43, v25, 0x77, vcc_lo
	v_or_b32_e32 v25, 0x800000, v26
	s_delay_alu instid0(VALU_DEP_2) | instskip(NEXT) | instid1(VALU_DEP_2)
	v_add_nc_u32_e32 v35, 20, v43
	v_cndmask_b32_e32 v33, v25, v26, vcc_lo
	s_delay_alu instid0(VALU_DEP_2) | instskip(SKIP_1) | instid1(VALU_DEP_3)
	v_lshlrev_b64 v[25:26], v35, -1
	v_add_nc_u32_e32 v35, 19, v43
	v_lshrrev_b64 v[41:42], v43, v[33:34]
	v_mov_b32_e32 v26, v34
	s_delay_alu instid0(VALU_DEP_3) | instskip(SKIP_1) | instid1(VALU_DEP_1)
	v_lshlrev_b64 v[35:36], v35, 1
	v_not_b32_e32 v25, v25
	v_and_b32_e32 v25, v33, v25
	v_and_b32_e32 v33, 0x100000, v41
	s_delay_alu instid0(VALU_DEP_2) | instskip(NEXT) | instid1(VALU_DEP_2)
	v_cmp_eq_u64_e64 s0, v[25:26], v[35:36]
	v_cmp_eq_u64_e64 s1, 0, v[33:34]
	v_cndmask_b32_e64 v25, v30, 0xffffff8a, vcc_lo
	v_lshrrev_b32_e32 v26, 23, v41
	s_delay_alu instid0(VALU_DEP_3) | instskip(NEXT) | instid1(VALU_DEP_1)
	s_and_b32 vcc_lo, s1, s0
	v_add3_u32 v35, v25, v43, v26
	v_subrev_co_ci_u32_e32 v30, vcc_lo, 0, v41, vcc_lo
	s_mov_b32 s0, exec_lo
	s_delay_alu instid0(VALU_DEP_2) | instskip(NEXT) | instid1(VALU_DEP_2)
	v_add_nc_u32_e32 v36, -1, v35
	v_and_b32_e32 v25, 0xfffff, v30
                                        ; implicit-def: $vgpr30
	s_delay_alu instid0(VALU_DEP_1) | instskip(SKIP_1) | instid1(VALU_DEP_4)
	v_add_co_u32 v25, vcc_lo, v25, v41
	v_add_co_ci_u32_e32 v26, vcc_lo, 0, v42, vcc_lo
	v_cmpx_ne_u32_e32 0, v36
	s_xor_b32 s0, exec_lo, s0
; %bb.46:                               ;   in Loop: Header=BB5_32 Depth=1
	s_delay_alu instid0(VALU_DEP_3) | instskip(SKIP_1) | instid1(VALU_DEP_2)
	v_and_b32_e32 v33, 0x1000000, v25
	v_bfe_u32 v30, v25, 24, 1
	v_cmp_eq_u64_e32 vcc_lo, 0, v[33:34]
	s_delay_alu instid0(VALU_DEP_2)
	v_lshrrev_b64 v[25:26], v30, v[25:26]
	v_cndmask_b32_e32 v30, v35, v36, vcc_lo
; %bb.47:                               ;   in Loop: Header=BB5_32 Depth=1
	s_and_not1_saveexec_b32 s0, s0
; %bb.48:                               ;   in Loop: Header=BB5_32 Depth=1
	s_delay_alu instid0(VALU_DEP_2)
	v_bfe_u32 v30, v25, 23, 1
; %bb.49:                               ;   in Loop: Header=BB5_32 Depth=1
	s_or_b32 exec_lo, exec_lo, s0
	s_delay_alu instid0(VALU_DEP_3) | instskip(NEXT) | instid1(VALU_DEP_2)
	v_lshrrev_b64 v[25:26], 20, v[25:26]
	v_cmp_gt_i32_e32 vcc_lo, 16, v30
	v_and_b32_e32 v29, 0x80, v29
	v_min_i32_e32 v33, 15, v30
	v_cmp_eq_u32_e64 s0, 0, v30
	v_dual_cndmask_b32 v26, 0, v26 :: v_dual_cndmask_b32 v25, 7, v25
	s_delay_alu instid0(VALU_DEP_3) | instskip(NEXT) | instid1(VALU_DEP_2)
	v_lshl_or_b32 v29, v33, 3, v29
	v_cmp_eq_u64_e32 vcc_lo, 0, v[25:26]
	s_delay_alu instid0(VALU_DEP_2)
	v_and_or_b32 v25, v25, 7, v29
	s_and_b32 s0, s0, vcc_lo
	s_delay_alu instid0(VALU_DEP_1) | instid1(SALU_CYCLE_1)
	v_cndmask_b32_e64 v25, v25, 0, s0
.LBB5_50:                               ;   in Loop: Header=BB5_32 Depth=1
	s_or_b32 exec_lo, exec_lo, s16
.LBB5_51:                               ;   in Loop: Header=BB5_32 Depth=1
	s_and_not1_saveexec_b32 s0, s15
	s_delay_alu instid0(SALU_CYCLE_1)
	s_or_b32 exec_lo, exec_lo, s0
.LBB5_52:                               ;   in Loop: Header=BB5_32 Depth=1
	s_and_not1_saveexec_b32 s0, s14
	s_delay_alu instid0(SALU_CYCLE_1) | instskip(SKIP_3) | instid1(VALU_DEP_2)
	s_or_b32 exec_lo, exec_lo, s0
	v_mul_f32_e32 v26, v27, v37
	v_add_nc_u32_e32 v30, 1, v38
	s_mov_b32 s0, exec_lo
	v_mul_f32_e32 v26, v26, v31
	global_store_b8 v30, v25, s[2:3]
	v_mul_f32_e32 v26, v39, v26
	s_delay_alu instid0(VALU_DEP_1) | instskip(NEXT) | instid1(VALU_DEP_1)
	v_minmax_f32 v29, v26, s13, 0xc3600000
	v_and_b32_e32 v33, 0x7f800000, v29
	v_lshrrev_b32_e32 v27, 24, v29
	s_delay_alu instid0(VALU_DEP_1) | instskip(NEXT) | instid1(VALU_DEP_3)
	v_or_b32_e32 v26, 0x7f, v27
	v_cmpx_ne_u64_e32 0x7f800000, v[33:34]
	s_xor_b32 s14, exec_lo, s0
	s_cbranch_execz .LBB5_62
; %bb.53:                               ;   in Loop: Header=BB5_32 Depth=1
	v_and_b32_e32 v33, 0x7fffffff, v29
	s_mov_b32 s0, exec_lo
	s_delay_alu instid0(VALU_DEP_1)
	v_cmpx_gt_u64_e32 0x43700001, v[33:34]
	s_xor_b32 s15, exec_lo, s0
	s_cbranch_execz .LBB5_61
; %bb.54:                               ;   in Loop: Header=BB5_32 Depth=1
	v_mov_b32_e32 v26, 0
	s_mov_b32 s16, exec_lo
	v_cmpx_ne_u32_e32 0, v29
	s_cbranch_execz .LBB5_60
; %bb.55:                               ;   in Loop: Header=BB5_32 Depth=1
	v_bfe_u32 v31, v29, 23, 8
	v_and_b32_e32 v26, 0x7fffff, v29
	s_delay_alu instid0(VALU_DEP_2) | instskip(SKIP_2) | instid1(VALU_DEP_3)
	v_sub_nc_u32_e64 v25, 0x78, v31 clamp
	v_cmp_eq_u32_e32 vcc_lo, 0, v31
	v_add_nc_u32_e32 v31, 0xffffff89, v31
	v_cndmask_b32_e64 v41, v25, 0x77, vcc_lo
	v_or_b32_e32 v25, 0x800000, v26
	s_delay_alu instid0(VALU_DEP_2) | instskip(NEXT) | instid1(VALU_DEP_2)
	v_add_nc_u32_e32 v29, 20, v41
	v_cndmask_b32_e32 v33, v25, v26, vcc_lo
	s_delay_alu instid0(VALU_DEP_2) | instskip(SKIP_1) | instid1(VALU_DEP_3)
	v_lshlrev_b64 v[25:26], v29, -1
	v_dual_mov_b32 v26, v34 :: v_dual_add_nc_u32 v29, 19, v41
	v_lshrrev_b64 v[35:36], v41, v[33:34]
	s_delay_alu instid0(VALU_DEP_3) | instskip(NEXT) | instid1(VALU_DEP_3)
	v_not_b32_e32 v25, v25
	v_lshlrev_b64 v[29:30], v29, 1
	s_delay_alu instid0(VALU_DEP_2) | instskip(NEXT) | instid1(VALU_DEP_4)
	v_and_b32_e32 v25, v33, v25
	v_and_b32_e32 v33, 0x100000, v35
	s_delay_alu instid0(VALU_DEP_2) | instskip(NEXT) | instid1(VALU_DEP_2)
	v_cmp_eq_u64_e64 s0, v[25:26], v[29:30]
	v_cmp_eq_u64_e64 s1, 0, v[33:34]
	v_cndmask_b32_e64 v25, v31, 0xffffff8a, vcc_lo
	v_lshrrev_b32_e32 v26, 23, v35
	s_delay_alu instid0(VALU_DEP_3) | instskip(NEXT) | instid1(VALU_DEP_1)
	s_and_b32 vcc_lo, s1, s0
	v_add3_u32 v30, v25, v41, v26
	v_subrev_co_ci_u32_e32 v29, vcc_lo, 0, v35, vcc_lo
	s_mov_b32 s0, exec_lo
	s_delay_alu instid0(VALU_DEP_2) | instskip(NEXT) | instid1(VALU_DEP_2)
	v_add_nc_u32_e32 v31, -1, v30
	v_and_b32_e32 v25, 0xfffff, v29
                                        ; implicit-def: $vgpr29
	s_delay_alu instid0(VALU_DEP_1) | instskip(SKIP_1) | instid1(VALU_DEP_4)
	v_add_co_u32 v25, vcc_lo, v25, v35
	v_add_co_ci_u32_e32 v26, vcc_lo, 0, v36, vcc_lo
	v_cmpx_ne_u32_e32 0, v31
	s_xor_b32 s0, exec_lo, s0
; %bb.56:                               ;   in Loop: Header=BB5_32 Depth=1
	s_delay_alu instid0(VALU_DEP_3) | instskip(SKIP_1) | instid1(VALU_DEP_2)
	v_and_b32_e32 v33, 0x1000000, v25
	v_bfe_u32 v29, v25, 24, 1
	v_cmp_eq_u64_e32 vcc_lo, 0, v[33:34]
	s_delay_alu instid0(VALU_DEP_2)
	v_lshrrev_b64 v[25:26], v29, v[25:26]
	v_cndmask_b32_e32 v29, v30, v31, vcc_lo
; %bb.57:                               ;   in Loop: Header=BB5_32 Depth=1
	s_and_not1_saveexec_b32 s0, s0
; %bb.58:                               ;   in Loop: Header=BB5_32 Depth=1
	s_delay_alu instid0(VALU_DEP_2)
	v_bfe_u32 v29, v25, 23, 1
; %bb.59:                               ;   in Loop: Header=BB5_32 Depth=1
	s_or_b32 exec_lo, exec_lo, s0
	s_delay_alu instid0(VALU_DEP_3) | instskip(NEXT) | instid1(VALU_DEP_2)
	v_lshrrev_b64 v[25:26], 20, v[25:26]
	v_cmp_gt_i32_e32 vcc_lo, 16, v29
	v_and_b32_e32 v27, 0x80, v27
	v_min_i32_e32 v30, 15, v29
	v_cmp_eq_u32_e64 s0, 0, v29
	v_dual_cndmask_b32 v26, 0, v26 :: v_dual_cndmask_b32 v25, 7, v25
	s_delay_alu instid0(VALU_DEP_3) | instskip(NEXT) | instid1(VALU_DEP_2)
	v_lshl_or_b32 v27, v30, 3, v27
	v_cmp_eq_u64_e32 vcc_lo, 0, v[25:26]
	s_delay_alu instid0(VALU_DEP_2)
	v_and_or_b32 v25, v25, 7, v27
	s_and_b32 s0, s0, vcc_lo
	s_delay_alu instid0(VALU_DEP_1) | instid1(SALU_CYCLE_1)
	v_cndmask_b32_e64 v26, v25, 0, s0
.LBB5_60:                               ;   in Loop: Header=BB5_32 Depth=1
	s_or_b32 exec_lo, exec_lo, s16
.LBB5_61:                               ;   in Loop: Header=BB5_32 Depth=1
	s_and_not1_saveexec_b32 s0, s15
	s_delay_alu instid0(SALU_CYCLE_1)
	s_or_b32 exec_lo, exec_lo, s0
.LBB5_62:                               ;   in Loop: Header=BB5_32 Depth=1
	s_and_not1_saveexec_b32 s0, s14
	s_delay_alu instid0(SALU_CYCLE_1) | instskip(SKIP_3) | instid1(VALU_DEP_2)
	s_or_b32 exec_lo, exec_lo, s0
	v_mul_f32_e32 v25, v28, v37
	v_add_nc_u32_e32 v29, 2, v38
	s_mov_b32 s0, exec_lo
	v_mul_f32_e32 v25, v25, v32
	global_store_b8 v29, v26, s[2:3]
	v_mul_f32_e32 v25, v39, v25
	s_delay_alu instid0(VALU_DEP_1) | instskip(NEXT) | instid1(VALU_DEP_1)
	v_minmax_f32 v28, v25, s13, 0xc3600000
	v_lshrrev_b32_e32 v27, 24, v28
	v_and_b32_e32 v33, 0x7f800000, v28
	s_delay_alu instid0(VALU_DEP_2) | instskip(NEXT) | instid1(VALU_DEP_2)
	v_or_b32_e32 v25, 0x7f, v27
	v_cmpx_ne_u64_e32 0x7f800000, v[33:34]
	s_xor_b32 s14, exec_lo, s0
	s_cbranch_execz .LBB5_72
; %bb.63:                               ;   in Loop: Header=BB5_32 Depth=1
	v_and_b32_e32 v33, 0x7fffffff, v28
	s_mov_b32 s0, exec_lo
	s_delay_alu instid0(VALU_DEP_1)
	v_cmpx_gt_u64_e32 0x43700001, v[33:34]
	s_xor_b32 s15, exec_lo, s0
	s_cbranch_execz .LBB5_71
; %bb.64:                               ;   in Loop: Header=BB5_32 Depth=1
	v_mov_b32_e32 v25, 0
	s_mov_b32 s16, exec_lo
	v_cmpx_ne_u32_e32 0, v28
	s_cbranch_execz .LBB5_70
; %bb.65:                               ;   in Loop: Header=BB5_32 Depth=1
	v_bfe_u32 v30, v28, 23, 8
	v_and_b32_e32 v26, 0x7fffff, v28
	s_delay_alu instid0(VALU_DEP_2) | instskip(SKIP_2) | instid1(VALU_DEP_3)
	v_sub_nc_u32_e64 v25, 0x78, v30 clamp
	v_cmp_eq_u32_e32 vcc_lo, 0, v30
	v_add_nc_u32_e32 v30, 0xffffff89, v30
	v_cndmask_b32_e64 v35, v25, 0x77, vcc_lo
	v_or_b32_e32 v25, 0x800000, v26
	s_delay_alu instid0(VALU_DEP_1) | instskip(NEXT) | instid1(VALU_DEP_1)
	v_dual_cndmask_b32 v33, v25, v26 :: v_dual_add_nc_u32 v28, 20, v35
	v_lshlrev_b64 v[25:26], v28, -1
	v_add_nc_u32_e32 v28, 19, v35
	s_delay_alu instid0(VALU_DEP_3) | instskip(NEXT) | instid1(VALU_DEP_2)
	v_lshrrev_b64 v[31:32], v35, v[33:34]
	v_lshlrev_b64 v[28:29], v28, 1
	s_delay_alu instid0(VALU_DEP_4) | instskip(NEXT) | instid1(VALU_DEP_1)
	v_not_b32_e32 v25, v25
	v_dual_mov_b32 v26, v34 :: v_dual_and_b32 v25, v33, v25
	s_delay_alu instid0(VALU_DEP_4) | instskip(NEXT) | instid1(VALU_DEP_2)
	v_and_b32_e32 v33, 0x100000, v31
	v_cmp_eq_u64_e64 s0, v[25:26], v[28:29]
	s_delay_alu instid0(VALU_DEP_2) | instskip(SKIP_2) | instid1(VALU_DEP_3)
	v_cmp_eq_u64_e64 s1, 0, v[33:34]
	v_cndmask_b32_e64 v25, v30, 0xffffff8a, vcc_lo
	v_lshrrev_b32_e32 v26, 23, v31
	s_and_b32 vcc_lo, s1, s0
	s_delay_alu instid0(VALU_DEP_1) | instskip(SKIP_2) | instid1(VALU_DEP_2)
	v_add3_u32 v29, v25, v35, v26
	v_subrev_co_ci_u32_e32 v28, vcc_lo, 0, v31, vcc_lo
	s_mov_b32 s0, exec_lo
	v_add_nc_u32_e32 v30, -1, v29
	s_delay_alu instid0(VALU_DEP_2) | instskip(NEXT) | instid1(VALU_DEP_1)
	v_and_b32_e32 v25, 0xfffff, v28
                                        ; implicit-def: $vgpr28
	v_add_co_u32 v25, vcc_lo, v25, v31
	v_add_co_ci_u32_e32 v26, vcc_lo, 0, v32, vcc_lo
	s_delay_alu instid0(VALU_DEP_4)
	v_cmpx_ne_u32_e32 0, v30
	s_xor_b32 s0, exec_lo, s0
; %bb.66:                               ;   in Loop: Header=BB5_32 Depth=1
	s_delay_alu instid0(VALU_DEP_3) | instskip(SKIP_1) | instid1(VALU_DEP_2)
	v_and_b32_e32 v33, 0x1000000, v25
	v_bfe_u32 v28, v25, 24, 1
	v_cmp_eq_u64_e32 vcc_lo, 0, v[33:34]
	s_delay_alu instid0(VALU_DEP_2)
	v_lshrrev_b64 v[25:26], v28, v[25:26]
	v_cndmask_b32_e32 v28, v29, v30, vcc_lo
; %bb.67:                               ;   in Loop: Header=BB5_32 Depth=1
	s_and_not1_saveexec_b32 s0, s0
; %bb.68:                               ;   in Loop: Header=BB5_32 Depth=1
	s_delay_alu instid0(VALU_DEP_2)
	v_bfe_u32 v28, v25, 23, 1
; %bb.69:                               ;   in Loop: Header=BB5_32 Depth=1
	s_or_b32 exec_lo, exec_lo, s0
	s_delay_alu instid0(VALU_DEP_3) | instskip(NEXT) | instid1(VALU_DEP_2)
	v_lshrrev_b64 v[25:26], 20, v[25:26]
	v_cmp_gt_i32_e32 vcc_lo, 16, v28
	v_and_b32_e32 v27, 0x80, v27
	v_min_i32_e32 v29, 15, v28
	v_cmp_eq_u32_e64 s0, 0, v28
	v_dual_cndmask_b32 v26, 0, v26 :: v_dual_cndmask_b32 v25, 7, v25
	s_delay_alu instid0(VALU_DEP_3) | instskip(NEXT) | instid1(VALU_DEP_2)
	v_lshl_or_b32 v27, v29, 3, v27
	v_cmp_eq_u64_e32 vcc_lo, 0, v[25:26]
	s_delay_alu instid0(VALU_DEP_2)
	v_and_or_b32 v25, v25, 7, v27
	s_and_b32 s0, s0, vcc_lo
	s_delay_alu instid0(VALU_DEP_1) | instid1(SALU_CYCLE_1)
	v_cndmask_b32_e64 v25, v25, 0, s0
.LBB5_70:                               ;   in Loop: Header=BB5_32 Depth=1
	s_or_b32 exec_lo, exec_lo, s16
.LBB5_71:                               ;   in Loop: Header=BB5_32 Depth=1
	s_and_not1_saveexec_b32 s0, s15
	s_delay_alu instid0(SALU_CYCLE_1)
	s_or_b32 exec_lo, exec_lo, s0
.LBB5_72:                               ;   in Loop: Header=BB5_32 Depth=1
	s_and_not1_saveexec_b32 s0, s14
	s_delay_alu instid0(SALU_CYCLE_1)
	s_or_b32 exec_lo, exec_lo, s0
	s_waitcnt vmcnt(5)
	v_mul_f32_e32 v17, v17, v37
	v_add_nc_u32_e32 v27, 3, v38
	s_mov_b32 s0, exec_lo
	s_waitcnt vmcnt(4)
	s_delay_alu instid0(VALU_DEP_2) | instskip(SKIP_2) | instid1(VALU_DEP_1)
	v_mul_f32_e32 v17, v17, v21
	global_store_b8 v27, v25, s[2:3]
	v_mul_f32_e32 v17, v39, v17
	v_minmax_f32 v21, v17, s13, 0xc3600000
	s_delay_alu instid0(VALU_DEP_1) | instskip(SKIP_1) | instid1(VALU_DEP_2)
	v_lshrrev_b32_e32 v17, 24, v21
	v_and_b32_e32 v33, 0x7f800000, v21
	v_or_b32_e32 v26, 0x7f, v17
	s_delay_alu instid0(VALU_DEP_2)
	v_cmpx_ne_u64_e32 0x7f800000, v[33:34]
	s_xor_b32 s14, exec_lo, s0
	s_cbranch_execz .LBB5_82
; %bb.73:                               ;   in Loop: Header=BB5_32 Depth=1
	v_and_b32_e32 v33, 0x7fffffff, v21
	s_mov_b32 s0, exec_lo
	s_delay_alu instid0(VALU_DEP_1)
	v_cmpx_gt_u64_e32 0x43700001, v[33:34]
	s_xor_b32 s15, exec_lo, s0
	s_cbranch_execz .LBB5_81
; %bb.74:                               ;   in Loop: Header=BB5_32 Depth=1
	v_mov_b32_e32 v26, 0
	s_mov_b32 s16, exec_lo
	v_cmpx_ne_u32_e32 0, v21
	s_cbranch_execz .LBB5_80
; %bb.75:                               ;   in Loop: Header=BB5_32 Depth=1
	v_bfe_u32 v31, v21, 23, 8
	v_and_b32_e32 v21, 0x7fffff, v21
	s_delay_alu instid0(VALU_DEP_2) | instskip(SKIP_1) | instid1(VALU_DEP_2)
	v_sub_nc_u32_e64 v25, 0x78, v31 clamp
	v_cmp_eq_u32_e32 vcc_lo, 0, v31
	v_cndmask_b32_e64 v32, v25, 0x77, vcc_lo
	s_delay_alu instid0(VALU_DEP_4) | instskip(NEXT) | instid1(VALU_DEP_1)
	v_or_b32_e32 v25, 0x800000, v21
	v_dual_cndmask_b32 v33, v25, v21 :: v_dual_add_nc_u32 v26, 20, v32
	v_add_nc_u32_e32 v21, 19, v32
	s_delay_alu instid0(VALU_DEP_2) | instskip(NEXT) | instid1(VALU_DEP_3)
	v_lshlrev_b64 v[25:26], v26, -1
	v_lshrrev_b64 v[29:30], v32, v[33:34]
	s_delay_alu instid0(VALU_DEP_3) | instskip(SKIP_1) | instid1(VALU_DEP_4)
	v_lshlrev_b64 v[27:28], v21, 1
	v_dual_mov_b32 v26, v34 :: v_dual_add_nc_u32 v21, 0xffffff89, v31
	v_not_b32_e32 v25, v25
	s_delay_alu instid0(VALU_DEP_2) | instskip(NEXT) | instid1(VALU_DEP_2)
	v_cndmask_b32_e64 v21, v21, 0xffffff8a, vcc_lo
	v_and_b32_e32 v25, v33, v25
	v_and_b32_e32 v33, 0x100000, v29
	s_delay_alu instid0(VALU_DEP_2) | instskip(NEXT) | instid1(VALU_DEP_2)
	v_cmp_eq_u64_e64 s0, v[25:26], v[27:28]
	v_cmp_eq_u64_e64 s1, 0, v[33:34]
	v_lshrrev_b32_e32 v25, 23, v29
	s_delay_alu instid0(VALU_DEP_1) | instskip(NEXT) | instid1(VALU_DEP_3)
	v_add3_u32 v27, v21, v32, v25
	s_and_b32 vcc_lo, s1, s0
	s_mov_b32 s0, exec_lo
	v_subrev_co_ci_u32_e32 v26, vcc_lo, 0, v29, vcc_lo
	s_delay_alu instid0(VALU_DEP_2) | instskip(NEXT) | instid1(VALU_DEP_2)
	v_add_nc_u32_e32 v28, -1, v27
	v_and_b32_e32 v21, 0xfffff, v26
	s_delay_alu instid0(VALU_DEP_1) | instskip(SKIP_1) | instid1(VALU_DEP_4)
	v_add_co_u32 v25, vcc_lo, v21, v29
	v_add_co_ci_u32_e32 v26, vcc_lo, 0, v30, vcc_lo
                                        ; implicit-def: $vgpr21
	v_cmpx_ne_u32_e32 0, v28
	s_xor_b32 s0, exec_lo, s0
; %bb.76:                               ;   in Loop: Header=BB5_32 Depth=1
	s_delay_alu instid0(VALU_DEP_3) | instskip(SKIP_1) | instid1(VALU_DEP_2)
	v_and_b32_e32 v33, 0x1000000, v25
	v_bfe_u32 v21, v25, 24, 1
	v_cmp_eq_u64_e32 vcc_lo, 0, v[33:34]
	s_delay_alu instid0(VALU_DEP_2)
	v_lshrrev_b64 v[25:26], v21, v[25:26]
	v_cndmask_b32_e32 v21, v27, v28, vcc_lo
; %bb.77:                               ;   in Loop: Header=BB5_32 Depth=1
	s_and_not1_saveexec_b32 s0, s0
; %bb.78:                               ;   in Loop: Header=BB5_32 Depth=1
	s_delay_alu instid0(VALU_DEP_2)
	v_bfe_u32 v21, v25, 23, 1
; %bb.79:                               ;   in Loop: Header=BB5_32 Depth=1
	s_or_b32 exec_lo, exec_lo, s0
	s_delay_alu instid0(VALU_DEP_3) | instskip(NEXT) | instid1(VALU_DEP_2)
	v_lshrrev_b64 v[25:26], 20, v[25:26]
	v_cmp_gt_i32_e32 vcc_lo, 16, v21
	v_and_b32_e32 v17, 0x80, v17
	v_min_i32_e32 v27, 15, v21
	v_cmp_eq_u32_e64 s0, 0, v21
	v_dual_cndmask_b32 v26, 0, v26 :: v_dual_cndmask_b32 v25, 7, v25
	s_delay_alu instid0(VALU_DEP_3) | instskip(NEXT) | instid1(VALU_DEP_2)
	v_lshl_or_b32 v17, v27, 3, v17
	v_cmp_eq_u64_e32 vcc_lo, 0, v[25:26]
	s_delay_alu instid0(VALU_DEP_2)
	v_and_or_b32 v17, v25, 7, v17
	s_and_b32 s0, s0, vcc_lo
	s_delay_alu instid0(VALU_DEP_1) | instid1(SALU_CYCLE_1)
	v_cndmask_b32_e64 v26, v17, 0, s0
.LBB5_80:                               ;   in Loop: Header=BB5_32 Depth=1
	s_or_b32 exec_lo, exec_lo, s16
.LBB5_81:                               ;   in Loop: Header=BB5_32 Depth=1
	s_and_not1_saveexec_b32 s0, s15
	s_delay_alu instid0(SALU_CYCLE_1)
	s_or_b32 exec_lo, exec_lo, s0
.LBB5_82:                               ;   in Loop: Header=BB5_32 Depth=1
	s_and_not1_saveexec_b32 s0, s14
	s_delay_alu instid0(SALU_CYCLE_1) | instskip(SKIP_2) | instid1(VALU_DEP_1)
	s_or_b32 exec_lo, exec_lo, s0
	v_mul_f32_e32 v17, v18, v37
	s_mov_b32 s0, exec_lo
	v_mul_f32_e32 v17, v17, v22
	s_delay_alu instid0(VALU_DEP_1) | instskip(SKIP_2) | instid1(VALU_DEP_1)
	v_dual_mul_f32 v17, v39, v17 :: v_dual_add_nc_u32 v22, 4, v38
	global_store_b8 v22, v26, s[2:3]
	v_minmax_f32 v18, v17, s13, 0xc3600000
	v_lshrrev_b32_e32 v21, 24, v18
	v_and_b32_e32 v33, 0x7f800000, v18
	s_delay_alu instid0(VALU_DEP_2) | instskip(NEXT) | instid1(VALU_DEP_2)
	v_or_b32_e32 v17, 0x7f, v21
	v_cmpx_ne_u64_e32 0x7f800000, v[33:34]
	s_xor_b32 s14, exec_lo, s0
	s_cbranch_execz .LBB5_92
; %bb.83:                               ;   in Loop: Header=BB5_32 Depth=1
	v_and_b32_e32 v33, 0x7fffffff, v18
	s_mov_b32 s0, exec_lo
	s_delay_alu instid0(VALU_DEP_1)
	v_cmpx_gt_u64_e32 0x43700001, v[33:34]
	s_xor_b32 s15, exec_lo, s0
	s_cbranch_execz .LBB5_91
; %bb.84:                               ;   in Loop: Header=BB5_32 Depth=1
	v_mov_b32_e32 v17, 0
	s_mov_b32 s16, exec_lo
	v_cmpx_ne_u32_e32 0, v18
	s_cbranch_execz .LBB5_90
; %bb.85:                               ;   in Loop: Header=BB5_32 Depth=1
	v_bfe_u32 v22, v18, 23, 8
	v_and_b32_e32 v18, 0x7fffff, v18
	s_delay_alu instid0(VALU_DEP_2) | instskip(SKIP_2) | instid1(VALU_DEP_3)
	v_sub_nc_u32_e64 v17, 0x78, v22 clamp
	v_cmp_eq_u32_e32 vcc_lo, 0, v22
	v_add_nc_u32_e32 v22, 0xffffff89, v22
	v_cndmask_b32_e64 v29, v17, 0x77, vcc_lo
	v_or_b32_e32 v17, 0x800000, v18
	s_delay_alu instid0(VALU_DEP_2) | instskip(NEXT) | instid1(VALU_DEP_2)
	v_add_nc_u32_e32 v25, 20, v29
	v_cndmask_b32_e32 v33, v17, v18, vcc_lo
	s_delay_alu instid0(VALU_DEP_2) | instskip(SKIP_1) | instid1(VALU_DEP_3)
	v_lshlrev_b64 v[17:18], v25, -1
	v_add_nc_u32_e32 v25, 19, v29
	v_lshrrev_b64 v[27:28], v29, v[33:34]
	v_mov_b32_e32 v18, v34
	s_delay_alu instid0(VALU_DEP_3) | instskip(SKIP_1) | instid1(VALU_DEP_1)
	v_lshlrev_b64 v[25:26], v25, 1
	v_not_b32_e32 v17, v17
	v_and_b32_e32 v17, v33, v17
	v_and_b32_e32 v33, 0x100000, v27
	s_delay_alu instid0(VALU_DEP_2) | instskip(NEXT) | instid1(VALU_DEP_2)
	v_cmp_eq_u64_e64 s0, v[17:18], v[25:26]
	v_cmp_eq_u64_e64 s1, 0, v[33:34]
	v_cndmask_b32_e64 v17, v22, 0xffffff8a, vcc_lo
	v_lshrrev_b32_e32 v18, 23, v27
	s_delay_alu instid0(VALU_DEP_3) | instskip(NEXT) | instid1(VALU_DEP_1)
	s_and_b32 vcc_lo, s1, s0
	v_add3_u32 v25, v17, v29, v18
	v_subrev_co_ci_u32_e32 v22, vcc_lo, 0, v27, vcc_lo
	s_mov_b32 s0, exec_lo
	s_delay_alu instid0(VALU_DEP_2) | instskip(NEXT) | instid1(VALU_DEP_2)
	v_add_nc_u32_e32 v26, -1, v25
	v_and_b32_e32 v17, 0xfffff, v22
                                        ; implicit-def: $vgpr22
	s_delay_alu instid0(VALU_DEP_1) | instskip(SKIP_1) | instid1(VALU_DEP_4)
	v_add_co_u32 v17, vcc_lo, v17, v27
	v_add_co_ci_u32_e32 v18, vcc_lo, 0, v28, vcc_lo
	v_cmpx_ne_u32_e32 0, v26
	s_xor_b32 s0, exec_lo, s0
; %bb.86:                               ;   in Loop: Header=BB5_32 Depth=1
	s_delay_alu instid0(VALU_DEP_3) | instskip(SKIP_1) | instid1(VALU_DEP_2)
	v_and_b32_e32 v33, 0x1000000, v17
	v_bfe_u32 v22, v17, 24, 1
	v_cmp_eq_u64_e32 vcc_lo, 0, v[33:34]
	s_delay_alu instid0(VALU_DEP_2)
	v_lshrrev_b64 v[17:18], v22, v[17:18]
	v_cndmask_b32_e32 v22, v25, v26, vcc_lo
; %bb.87:                               ;   in Loop: Header=BB5_32 Depth=1
	s_and_not1_saveexec_b32 s0, s0
; %bb.88:                               ;   in Loop: Header=BB5_32 Depth=1
	s_delay_alu instid0(VALU_DEP_2)
	v_bfe_u32 v22, v17, 23, 1
; %bb.89:                               ;   in Loop: Header=BB5_32 Depth=1
	s_or_b32 exec_lo, exec_lo, s0
	s_delay_alu instid0(VALU_DEP_3) | instskip(NEXT) | instid1(VALU_DEP_2)
	v_lshrrev_b64 v[17:18], 20, v[17:18]
	v_cmp_gt_i32_e32 vcc_lo, 16, v22
	v_and_b32_e32 v21, 0x80, v21
	v_min_i32_e32 v25, 15, v22
	v_cmp_eq_u32_e64 s0, 0, v22
	v_dual_cndmask_b32 v18, 0, v18 :: v_dual_cndmask_b32 v17, 7, v17
	s_delay_alu instid0(VALU_DEP_3) | instskip(NEXT) | instid1(VALU_DEP_2)
	v_lshl_or_b32 v21, v25, 3, v21
	v_cmp_eq_u64_e32 vcc_lo, 0, v[17:18]
	s_delay_alu instid0(VALU_DEP_2)
	v_and_or_b32 v17, v17, 7, v21
	s_and_b32 s0, s0, vcc_lo
	s_delay_alu instid0(VALU_DEP_1) | instid1(SALU_CYCLE_1)
	v_cndmask_b32_e64 v17, v17, 0, s0
.LBB5_90:                               ;   in Loop: Header=BB5_32 Depth=1
	s_or_b32 exec_lo, exec_lo, s16
.LBB5_91:                               ;   in Loop: Header=BB5_32 Depth=1
	s_and_not1_saveexec_b32 s0, s15
	s_delay_alu instid0(SALU_CYCLE_1)
	s_or_b32 exec_lo, exec_lo, s0
.LBB5_92:                               ;   in Loop: Header=BB5_32 Depth=1
	s_and_not1_saveexec_b32 s0, s14
	s_delay_alu instid0(SALU_CYCLE_1) | instskip(SKIP_3) | instid1(VALU_DEP_2)
	s_or_b32 exec_lo, exec_lo, s0
	v_mul_f32_e32 v18, v19, v37
	v_add_nc_u32_e32 v22, 5, v38
	s_mov_b32 s0, exec_lo
	v_mul_f32_e32 v18, v18, v23
	global_store_b8 v22, v17, s[2:3]
	v_mul_f32_e32 v18, v39, v18
	s_delay_alu instid0(VALU_DEP_1) | instskip(NEXT) | instid1(VALU_DEP_1)
	v_minmax_f32 v21, v18, s13, 0xc3600000
	v_and_b32_e32 v33, 0x7f800000, v21
	v_lshrrev_b32_e32 v19, 24, v21
	s_delay_alu instid0(VALU_DEP_1) | instskip(NEXT) | instid1(VALU_DEP_3)
	v_or_b32_e32 v18, 0x7f, v19
	v_cmpx_ne_u64_e32 0x7f800000, v[33:34]
	s_xor_b32 s14, exec_lo, s0
	s_cbranch_execz .LBB5_102
; %bb.93:                               ;   in Loop: Header=BB5_32 Depth=1
	v_and_b32_e32 v33, 0x7fffffff, v21
	s_mov_b32 s0, exec_lo
	s_delay_alu instid0(VALU_DEP_1)
	v_cmpx_gt_u64_e32 0x43700001, v[33:34]
	s_xor_b32 s15, exec_lo, s0
	s_cbranch_execz .LBB5_101
; %bb.94:                               ;   in Loop: Header=BB5_32 Depth=1
	v_mov_b32_e32 v18, 0
	s_mov_b32 s16, exec_lo
	v_cmpx_ne_u32_e32 0, v21
	s_cbranch_execz .LBB5_100
; %bb.95:                               ;   in Loop: Header=BB5_32 Depth=1
	v_bfe_u32 v23, v21, 23, 8
	v_and_b32_e32 v18, 0x7fffff, v21
	s_delay_alu instid0(VALU_DEP_2) | instskip(SKIP_2) | instid1(VALU_DEP_3)
	v_sub_nc_u32_e64 v17, 0x78, v23 clamp
	v_cmp_eq_u32_e32 vcc_lo, 0, v23
	v_add_nc_u32_e32 v23, 0xffffff89, v23
	v_cndmask_b32_e64 v27, v17, 0x77, vcc_lo
	v_or_b32_e32 v17, 0x800000, v18
	s_delay_alu instid0(VALU_DEP_2) | instskip(NEXT) | instid1(VALU_DEP_2)
	v_add_nc_u32_e32 v21, 20, v27
	v_cndmask_b32_e32 v33, v17, v18, vcc_lo
	s_delay_alu instid0(VALU_DEP_2) | instskip(SKIP_1) | instid1(VALU_DEP_3)
	v_lshlrev_b64 v[17:18], v21, -1
	v_dual_mov_b32 v18, v34 :: v_dual_add_nc_u32 v21, 19, v27
	v_lshrrev_b64 v[25:26], v27, v[33:34]
	s_delay_alu instid0(VALU_DEP_3) | instskip(NEXT) | instid1(VALU_DEP_3)
	v_not_b32_e32 v17, v17
	v_lshlrev_b64 v[21:22], v21, 1
	s_delay_alu instid0(VALU_DEP_2) | instskip(NEXT) | instid1(VALU_DEP_4)
	v_and_b32_e32 v17, v33, v17
	v_and_b32_e32 v33, 0x100000, v25
	s_delay_alu instid0(VALU_DEP_2) | instskip(NEXT) | instid1(VALU_DEP_2)
	v_cmp_eq_u64_e64 s0, v[17:18], v[21:22]
	v_cmp_eq_u64_e64 s1, 0, v[33:34]
	v_cndmask_b32_e64 v17, v23, 0xffffff8a, vcc_lo
	v_lshrrev_b32_e32 v18, 23, v25
	s_delay_alu instid0(VALU_DEP_3) | instskip(NEXT) | instid1(VALU_DEP_1)
	s_and_b32 vcc_lo, s1, s0
	v_add3_u32 v22, v17, v27, v18
	v_subrev_co_ci_u32_e32 v21, vcc_lo, 0, v25, vcc_lo
	s_mov_b32 s0, exec_lo
	s_delay_alu instid0(VALU_DEP_2) | instskip(NEXT) | instid1(VALU_DEP_2)
	v_add_nc_u32_e32 v23, -1, v22
	v_and_b32_e32 v17, 0xfffff, v21
                                        ; implicit-def: $vgpr21
	s_delay_alu instid0(VALU_DEP_1) | instskip(SKIP_1) | instid1(VALU_DEP_4)
	v_add_co_u32 v17, vcc_lo, v17, v25
	v_add_co_ci_u32_e32 v18, vcc_lo, 0, v26, vcc_lo
	v_cmpx_ne_u32_e32 0, v23
	s_xor_b32 s0, exec_lo, s0
; %bb.96:                               ;   in Loop: Header=BB5_32 Depth=1
	s_delay_alu instid0(VALU_DEP_3) | instskip(SKIP_1) | instid1(VALU_DEP_2)
	v_and_b32_e32 v33, 0x1000000, v17
	v_bfe_u32 v21, v17, 24, 1
	v_cmp_eq_u64_e32 vcc_lo, 0, v[33:34]
	s_delay_alu instid0(VALU_DEP_2)
	v_lshrrev_b64 v[17:18], v21, v[17:18]
	v_cndmask_b32_e32 v21, v22, v23, vcc_lo
; %bb.97:                               ;   in Loop: Header=BB5_32 Depth=1
	s_and_not1_saveexec_b32 s0, s0
; %bb.98:                               ;   in Loop: Header=BB5_32 Depth=1
	s_delay_alu instid0(VALU_DEP_2)
	v_bfe_u32 v21, v17, 23, 1
; %bb.99:                               ;   in Loop: Header=BB5_32 Depth=1
	s_or_b32 exec_lo, exec_lo, s0
	s_delay_alu instid0(VALU_DEP_3) | instskip(NEXT) | instid1(VALU_DEP_2)
	v_lshrrev_b64 v[17:18], 20, v[17:18]
	v_cmp_gt_i32_e32 vcc_lo, 16, v21
	v_and_b32_e32 v19, 0x80, v19
	v_min_i32_e32 v22, 15, v21
	v_cmp_eq_u32_e64 s0, 0, v21
	v_dual_cndmask_b32 v18, 0, v18 :: v_dual_cndmask_b32 v17, 7, v17
	s_delay_alu instid0(VALU_DEP_3) | instskip(NEXT) | instid1(VALU_DEP_2)
	v_lshl_or_b32 v19, v22, 3, v19
	v_cmp_eq_u64_e32 vcc_lo, 0, v[17:18]
	s_delay_alu instid0(VALU_DEP_2)
	v_and_or_b32 v17, v17, 7, v19
	s_and_b32 s0, s0, vcc_lo
	s_delay_alu instid0(VALU_DEP_1) | instid1(SALU_CYCLE_1)
	v_cndmask_b32_e64 v18, v17, 0, s0
.LBB5_100:                              ;   in Loop: Header=BB5_32 Depth=1
	s_or_b32 exec_lo, exec_lo, s16
.LBB5_101:                              ;   in Loop: Header=BB5_32 Depth=1
	s_and_not1_saveexec_b32 s0, s15
	s_delay_alu instid0(SALU_CYCLE_1)
	s_or_b32 exec_lo, exec_lo, s0
.LBB5_102:                              ;   in Loop: Header=BB5_32 Depth=1
	s_and_not1_saveexec_b32 s0, s14
	s_delay_alu instid0(SALU_CYCLE_1) | instskip(SKIP_3) | instid1(VALU_DEP_2)
	s_or_b32 exec_lo, exec_lo, s0
	v_mul_f32_e32 v17, v20, v37
	v_add_nc_u32_e32 v21, 6, v38
	s_mov_b32 s0, exec_lo
	v_mul_f32_e32 v17, v17, v24
	global_store_b8 v21, v18, s[2:3]
	v_mul_f32_e32 v17, v39, v17
	s_delay_alu instid0(VALU_DEP_1) | instskip(NEXT) | instid1(VALU_DEP_1)
	v_minmax_f32 v20, v17, s13, 0xc3600000
	v_lshrrev_b32_e32 v19, 24, v20
	v_and_b32_e32 v33, 0x7f800000, v20
	s_delay_alu instid0(VALU_DEP_2) | instskip(NEXT) | instid1(VALU_DEP_2)
	v_or_b32_e32 v17, 0x7f, v19
	v_cmpx_ne_u64_e32 0x7f800000, v[33:34]
	s_xor_b32 s14, exec_lo, s0
	s_cbranch_execz .LBB5_112
; %bb.103:                              ;   in Loop: Header=BB5_32 Depth=1
	v_and_b32_e32 v33, 0x7fffffff, v20
	s_mov_b32 s0, exec_lo
	s_delay_alu instid0(VALU_DEP_1)
	v_cmpx_gt_u64_e32 0x43700001, v[33:34]
	s_xor_b32 s15, exec_lo, s0
	s_cbranch_execz .LBB5_111
; %bb.104:                              ;   in Loop: Header=BB5_32 Depth=1
	v_mov_b32_e32 v17, 0
	s_mov_b32 s16, exec_lo
	v_cmpx_ne_u32_e32 0, v20
	s_cbranch_execz .LBB5_110
; %bb.105:                              ;   in Loop: Header=BB5_32 Depth=1
	v_bfe_u32 v22, v20, 23, 8
	v_and_b32_e32 v18, 0x7fffff, v20
	s_delay_alu instid0(VALU_DEP_2) | instskip(SKIP_2) | instid1(VALU_DEP_3)
	v_sub_nc_u32_e64 v17, 0x78, v22 clamp
	v_cmp_eq_u32_e32 vcc_lo, 0, v22
	v_add_nc_u32_e32 v22, 0xffffff89, v22
	v_cndmask_b32_e64 v25, v17, 0x77, vcc_lo
	v_or_b32_e32 v17, 0x800000, v18
	s_delay_alu instid0(VALU_DEP_1) | instskip(NEXT) | instid1(VALU_DEP_1)
	v_dual_cndmask_b32 v33, v17, v18 :: v_dual_add_nc_u32 v20, 20, v25
	v_lshlrev_b64 v[17:18], v20, -1
	v_add_nc_u32_e32 v20, 19, v25
	s_delay_alu instid0(VALU_DEP_3) | instskip(NEXT) | instid1(VALU_DEP_2)
	v_lshrrev_b64 v[23:24], v25, v[33:34]
	v_lshlrev_b64 v[20:21], v20, 1
	s_delay_alu instid0(VALU_DEP_4) | instskip(NEXT) | instid1(VALU_DEP_1)
	v_not_b32_e32 v17, v17
	v_dual_mov_b32 v18, v34 :: v_dual_and_b32 v17, v33, v17
	s_delay_alu instid0(VALU_DEP_4) | instskip(NEXT) | instid1(VALU_DEP_2)
	v_and_b32_e32 v33, 0x100000, v23
	v_cmp_eq_u64_e64 s0, v[17:18], v[20:21]
	s_delay_alu instid0(VALU_DEP_2) | instskip(SKIP_2) | instid1(VALU_DEP_3)
	v_cmp_eq_u64_e64 s1, 0, v[33:34]
	v_cndmask_b32_e64 v17, v22, 0xffffff8a, vcc_lo
	v_lshrrev_b32_e32 v18, 23, v23
	s_and_b32 vcc_lo, s1, s0
	s_delay_alu instid0(VALU_DEP_1) | instskip(SKIP_2) | instid1(VALU_DEP_2)
	v_add3_u32 v21, v17, v25, v18
	v_subrev_co_ci_u32_e32 v20, vcc_lo, 0, v23, vcc_lo
	s_mov_b32 s0, exec_lo
	v_add_nc_u32_e32 v22, -1, v21
	s_delay_alu instid0(VALU_DEP_2) | instskip(NEXT) | instid1(VALU_DEP_1)
	v_and_b32_e32 v17, 0xfffff, v20
                                        ; implicit-def: $vgpr20
	v_add_co_u32 v17, vcc_lo, v17, v23
	v_add_co_ci_u32_e32 v18, vcc_lo, 0, v24, vcc_lo
	s_delay_alu instid0(VALU_DEP_4)
	v_cmpx_ne_u32_e32 0, v22
	s_xor_b32 s0, exec_lo, s0
; %bb.106:                              ;   in Loop: Header=BB5_32 Depth=1
	s_delay_alu instid0(VALU_DEP_3) | instskip(SKIP_1) | instid1(VALU_DEP_2)
	v_and_b32_e32 v33, 0x1000000, v17
	v_bfe_u32 v20, v17, 24, 1
	v_cmp_eq_u64_e32 vcc_lo, 0, v[33:34]
	s_delay_alu instid0(VALU_DEP_2)
	v_lshrrev_b64 v[17:18], v20, v[17:18]
	v_cndmask_b32_e32 v20, v21, v22, vcc_lo
; %bb.107:                              ;   in Loop: Header=BB5_32 Depth=1
	s_and_not1_saveexec_b32 s0, s0
; %bb.108:                              ;   in Loop: Header=BB5_32 Depth=1
	s_delay_alu instid0(VALU_DEP_2)
	v_bfe_u32 v20, v17, 23, 1
; %bb.109:                              ;   in Loop: Header=BB5_32 Depth=1
	s_or_b32 exec_lo, exec_lo, s0
	s_delay_alu instid0(VALU_DEP_3) | instskip(NEXT) | instid1(VALU_DEP_2)
	v_lshrrev_b64 v[17:18], 20, v[17:18]
	v_cmp_gt_i32_e32 vcc_lo, 16, v20
	v_and_b32_e32 v19, 0x80, v19
	v_min_i32_e32 v21, 15, v20
	v_cmp_eq_u32_e64 s0, 0, v20
	v_dual_cndmask_b32 v18, 0, v18 :: v_dual_cndmask_b32 v17, 7, v17
	s_delay_alu instid0(VALU_DEP_3) | instskip(NEXT) | instid1(VALU_DEP_2)
	v_lshl_or_b32 v19, v21, 3, v19
	v_cmp_eq_u64_e32 vcc_lo, 0, v[17:18]
	s_delay_alu instid0(VALU_DEP_2)
	v_and_or_b32 v17, v17, 7, v19
	s_and_b32 s0, s0, vcc_lo
	s_delay_alu instid0(VALU_DEP_1) | instid1(SALU_CYCLE_1)
	v_cndmask_b32_e64 v17, v17, 0, s0
.LBB5_110:                              ;   in Loop: Header=BB5_32 Depth=1
	s_or_b32 exec_lo, exec_lo, s16
.LBB5_111:                              ;   in Loop: Header=BB5_32 Depth=1
	s_and_not1_saveexec_b32 s0, s15
	s_delay_alu instid0(SALU_CYCLE_1)
	s_or_b32 exec_lo, exec_lo, s0
.LBB5_112:                              ;   in Loop: Header=BB5_32 Depth=1
	s_and_not1_saveexec_b32 s0, s14
	s_delay_alu instid0(SALU_CYCLE_1)
	s_or_b32 exec_lo, exec_lo, s0
	s_waitcnt vmcnt(2)
	v_mul_f32_e32 v9, v9, v37
	v_add_nc_u32_e32 v19, 7, v38
	s_mov_b32 s0, exec_lo
	s_waitcnt vmcnt(0)
	s_delay_alu instid0(VALU_DEP_2) | instskip(SKIP_2) | instid1(VALU_DEP_1)
	v_mul_f32_e32 v9, v9, v13
	global_store_b8 v19, v17, s[2:3]
	v_mul_f32_e32 v9, v39, v9
	v_minmax_f32 v13, v9, s13, 0xc3600000
	s_delay_alu instid0(VALU_DEP_1) | instskip(SKIP_1) | instid1(VALU_DEP_2)
	v_lshrrev_b32_e32 v9, 24, v13
	v_and_b32_e32 v33, 0x7f800000, v13
	v_or_b32_e32 v18, 0x7f, v9
	s_delay_alu instid0(VALU_DEP_2)
	v_cmpx_ne_u64_e32 0x7f800000, v[33:34]
	s_xor_b32 s14, exec_lo, s0
	s_cbranch_execz .LBB5_122
; %bb.113:                              ;   in Loop: Header=BB5_32 Depth=1
	v_and_b32_e32 v33, 0x7fffffff, v13
	s_mov_b32 s0, exec_lo
	s_delay_alu instid0(VALU_DEP_1)
	v_cmpx_gt_u64_e32 0x43700001, v[33:34]
	s_xor_b32 s15, exec_lo, s0
	s_cbranch_execz .LBB5_121
; %bb.114:                              ;   in Loop: Header=BB5_32 Depth=1
	v_mov_b32_e32 v18, 0
	s_mov_b32 s16, exec_lo
	v_cmpx_ne_u32_e32 0, v13
	s_cbranch_execz .LBB5_120
; %bb.115:                              ;   in Loop: Header=BB5_32 Depth=1
	v_bfe_u32 v23, v13, 23, 8
	v_and_b32_e32 v13, 0x7fffff, v13
	s_delay_alu instid0(VALU_DEP_2) | instskip(SKIP_1) | instid1(VALU_DEP_2)
	v_sub_nc_u32_e64 v17, 0x78, v23 clamp
	v_cmp_eq_u32_e32 vcc_lo, 0, v23
	v_cndmask_b32_e64 v24, v17, 0x77, vcc_lo
	s_delay_alu instid0(VALU_DEP_4) | instskip(NEXT) | instid1(VALU_DEP_1)
	v_or_b32_e32 v17, 0x800000, v13
	v_dual_cndmask_b32 v33, v17, v13 :: v_dual_add_nc_u32 v18, 20, v24
	v_add_nc_u32_e32 v13, 19, v24
	s_delay_alu instid0(VALU_DEP_2) | instskip(NEXT) | instid1(VALU_DEP_3)
	v_lshlrev_b64 v[17:18], v18, -1
	v_lshrrev_b64 v[21:22], v24, v[33:34]
	s_delay_alu instid0(VALU_DEP_3) | instskip(SKIP_1) | instid1(VALU_DEP_4)
	v_lshlrev_b64 v[19:20], v13, 1
	v_dual_mov_b32 v18, v34 :: v_dual_add_nc_u32 v13, 0xffffff89, v23
	v_not_b32_e32 v17, v17
	s_delay_alu instid0(VALU_DEP_2) | instskip(NEXT) | instid1(VALU_DEP_2)
	v_cndmask_b32_e64 v13, v13, 0xffffff8a, vcc_lo
	v_and_b32_e32 v17, v33, v17
	v_and_b32_e32 v33, 0x100000, v21
	s_delay_alu instid0(VALU_DEP_2) | instskip(NEXT) | instid1(VALU_DEP_2)
	v_cmp_eq_u64_e64 s0, v[17:18], v[19:20]
	v_cmp_eq_u64_e64 s1, 0, v[33:34]
	v_lshrrev_b32_e32 v17, 23, v21
	s_delay_alu instid0(VALU_DEP_1) | instskip(NEXT) | instid1(VALU_DEP_3)
	v_add3_u32 v19, v13, v24, v17
	s_and_b32 vcc_lo, s1, s0
	s_mov_b32 s0, exec_lo
	v_subrev_co_ci_u32_e32 v18, vcc_lo, 0, v21, vcc_lo
	s_delay_alu instid0(VALU_DEP_2) | instskip(NEXT) | instid1(VALU_DEP_2)
	v_add_nc_u32_e32 v20, -1, v19
	v_and_b32_e32 v13, 0xfffff, v18
	s_delay_alu instid0(VALU_DEP_1) | instskip(SKIP_1) | instid1(VALU_DEP_4)
	v_add_co_u32 v17, vcc_lo, v13, v21
	v_add_co_ci_u32_e32 v18, vcc_lo, 0, v22, vcc_lo
                                        ; implicit-def: $vgpr13
	v_cmpx_ne_u32_e32 0, v20
	s_xor_b32 s0, exec_lo, s0
; %bb.116:                              ;   in Loop: Header=BB5_32 Depth=1
	s_delay_alu instid0(VALU_DEP_3) | instskip(SKIP_1) | instid1(VALU_DEP_2)
	v_and_b32_e32 v33, 0x1000000, v17
	v_bfe_u32 v13, v17, 24, 1
	v_cmp_eq_u64_e32 vcc_lo, 0, v[33:34]
	s_delay_alu instid0(VALU_DEP_2)
	v_lshrrev_b64 v[17:18], v13, v[17:18]
	v_cndmask_b32_e32 v13, v19, v20, vcc_lo
; %bb.117:                              ;   in Loop: Header=BB5_32 Depth=1
	s_and_not1_saveexec_b32 s0, s0
; %bb.118:                              ;   in Loop: Header=BB5_32 Depth=1
	s_delay_alu instid0(VALU_DEP_2)
	v_bfe_u32 v13, v17, 23, 1
; %bb.119:                              ;   in Loop: Header=BB5_32 Depth=1
	s_or_b32 exec_lo, exec_lo, s0
	s_delay_alu instid0(VALU_DEP_3) | instskip(NEXT) | instid1(VALU_DEP_2)
	v_lshrrev_b64 v[17:18], 20, v[17:18]
	v_cmp_gt_i32_e32 vcc_lo, 16, v13
	v_and_b32_e32 v9, 0x80, v9
	v_min_i32_e32 v19, 15, v13
	v_cmp_eq_u32_e64 s0, 0, v13
	v_dual_cndmask_b32 v18, 0, v18 :: v_dual_cndmask_b32 v17, 7, v17
	s_delay_alu instid0(VALU_DEP_3) | instskip(NEXT) | instid1(VALU_DEP_2)
	v_lshl_or_b32 v9, v19, 3, v9
	v_cmp_eq_u64_e32 vcc_lo, 0, v[17:18]
	s_delay_alu instid0(VALU_DEP_2)
	v_and_or_b32 v9, v17, 7, v9
	s_and_b32 s0, s0, vcc_lo
	s_delay_alu instid0(VALU_DEP_1) | instid1(SALU_CYCLE_1)
	v_cndmask_b32_e64 v18, v9, 0, s0
.LBB5_120:                              ;   in Loop: Header=BB5_32 Depth=1
	s_or_b32 exec_lo, exec_lo, s16
.LBB5_121:                              ;   in Loop: Header=BB5_32 Depth=1
	s_and_not1_saveexec_b32 s0, s15
	s_delay_alu instid0(SALU_CYCLE_1)
	s_or_b32 exec_lo, exec_lo, s0
.LBB5_122:                              ;   in Loop: Header=BB5_32 Depth=1
	s_and_not1_saveexec_b32 s0, s14
	s_delay_alu instid0(SALU_CYCLE_1) | instskip(SKIP_2) | instid1(VALU_DEP_1)
	s_or_b32 exec_lo, exec_lo, s0
	v_mul_f32_e32 v9, v10, v37
	s_mov_b32 s0, exec_lo
	v_mul_f32_e32 v9, v9, v14
	s_delay_alu instid0(VALU_DEP_1) | instskip(SKIP_2) | instid1(VALU_DEP_1)
	v_dual_mul_f32 v9, v39, v9 :: v_dual_add_nc_u32 v14, 8, v38
	global_store_b8 v14, v18, s[2:3]
	v_minmax_f32 v10, v9, s13, 0xc3600000
	v_lshrrev_b32_e32 v13, 24, v10
	v_and_b32_e32 v33, 0x7f800000, v10
	s_delay_alu instid0(VALU_DEP_2) | instskip(NEXT) | instid1(VALU_DEP_2)
	v_or_b32_e32 v9, 0x7f, v13
	v_cmpx_ne_u64_e32 0x7f800000, v[33:34]
	s_xor_b32 s14, exec_lo, s0
	s_cbranch_execz .LBB5_132
; %bb.123:                              ;   in Loop: Header=BB5_32 Depth=1
	v_and_b32_e32 v33, 0x7fffffff, v10
	s_mov_b32 s0, exec_lo
	s_delay_alu instid0(VALU_DEP_1)
	v_cmpx_gt_u64_e32 0x43700001, v[33:34]
	s_xor_b32 s15, exec_lo, s0
	s_cbranch_execz .LBB5_131
; %bb.124:                              ;   in Loop: Header=BB5_32 Depth=1
	v_mov_b32_e32 v9, 0
	s_mov_b32 s16, exec_lo
	v_cmpx_ne_u32_e32 0, v10
	s_cbranch_execz .LBB5_130
; %bb.125:                              ;   in Loop: Header=BB5_32 Depth=1
	v_bfe_u32 v14, v10, 23, 8
	v_and_b32_e32 v10, 0x7fffff, v10
	s_delay_alu instid0(VALU_DEP_2) | instskip(SKIP_2) | instid1(VALU_DEP_3)
	v_sub_nc_u32_e64 v9, 0x78, v14 clamp
	v_cmp_eq_u32_e32 vcc_lo, 0, v14
	v_add_nc_u32_e32 v14, 0xffffff89, v14
	v_cndmask_b32_e64 v21, v9, 0x77, vcc_lo
	v_or_b32_e32 v9, 0x800000, v10
	s_delay_alu instid0(VALU_DEP_2) | instskip(NEXT) | instid1(VALU_DEP_2)
	v_add_nc_u32_e32 v17, 20, v21
	v_cndmask_b32_e32 v33, v9, v10, vcc_lo
	s_delay_alu instid0(VALU_DEP_2) | instskip(SKIP_1) | instid1(VALU_DEP_3)
	v_lshlrev_b64 v[9:10], v17, -1
	v_add_nc_u32_e32 v17, 19, v21
	v_lshrrev_b64 v[19:20], v21, v[33:34]
	v_mov_b32_e32 v10, v34
	s_delay_alu instid0(VALU_DEP_3) | instskip(SKIP_1) | instid1(VALU_DEP_1)
	v_lshlrev_b64 v[17:18], v17, 1
	v_not_b32_e32 v9, v9
	v_and_b32_e32 v9, v33, v9
	v_and_b32_e32 v33, 0x100000, v19
	s_delay_alu instid0(VALU_DEP_2) | instskip(NEXT) | instid1(VALU_DEP_2)
	v_cmp_eq_u64_e64 s0, v[9:10], v[17:18]
	v_cmp_eq_u64_e64 s1, 0, v[33:34]
	v_cndmask_b32_e64 v9, v14, 0xffffff8a, vcc_lo
	v_lshrrev_b32_e32 v10, 23, v19
	s_delay_alu instid0(VALU_DEP_3) | instskip(NEXT) | instid1(VALU_DEP_1)
	s_and_b32 vcc_lo, s1, s0
	v_add3_u32 v17, v9, v21, v10
	v_subrev_co_ci_u32_e32 v14, vcc_lo, 0, v19, vcc_lo
	s_mov_b32 s0, exec_lo
	s_delay_alu instid0(VALU_DEP_2) | instskip(NEXT) | instid1(VALU_DEP_2)
	v_add_nc_u32_e32 v18, -1, v17
	v_and_b32_e32 v9, 0xfffff, v14
                                        ; implicit-def: $vgpr14
	s_delay_alu instid0(VALU_DEP_1) | instskip(SKIP_1) | instid1(VALU_DEP_4)
	v_add_co_u32 v9, vcc_lo, v9, v19
	v_add_co_ci_u32_e32 v10, vcc_lo, 0, v20, vcc_lo
	v_cmpx_ne_u32_e32 0, v18
	s_xor_b32 s0, exec_lo, s0
; %bb.126:                              ;   in Loop: Header=BB5_32 Depth=1
	s_delay_alu instid0(VALU_DEP_3) | instskip(SKIP_1) | instid1(VALU_DEP_2)
	v_and_b32_e32 v33, 0x1000000, v9
	v_bfe_u32 v14, v9, 24, 1
	v_cmp_eq_u64_e32 vcc_lo, 0, v[33:34]
	s_delay_alu instid0(VALU_DEP_2)
	v_lshrrev_b64 v[9:10], v14, v[9:10]
	v_cndmask_b32_e32 v14, v17, v18, vcc_lo
; %bb.127:                              ;   in Loop: Header=BB5_32 Depth=1
	s_and_not1_saveexec_b32 s0, s0
; %bb.128:                              ;   in Loop: Header=BB5_32 Depth=1
	s_delay_alu instid0(VALU_DEP_2)
	v_bfe_u32 v14, v9, 23, 1
; %bb.129:                              ;   in Loop: Header=BB5_32 Depth=1
	s_or_b32 exec_lo, exec_lo, s0
	s_delay_alu instid0(VALU_DEP_3) | instskip(NEXT) | instid1(VALU_DEP_2)
	v_lshrrev_b64 v[9:10], 20, v[9:10]
	v_cmp_gt_i32_e32 vcc_lo, 16, v14
	v_and_b32_e32 v13, 0x80, v13
	v_min_i32_e32 v17, 15, v14
	v_cmp_eq_u32_e64 s0, 0, v14
	v_dual_cndmask_b32 v10, 0, v10 :: v_dual_cndmask_b32 v9, 7, v9
	s_delay_alu instid0(VALU_DEP_3) | instskip(NEXT) | instid1(VALU_DEP_2)
	v_lshl_or_b32 v13, v17, 3, v13
	v_cmp_eq_u64_e32 vcc_lo, 0, v[9:10]
	s_delay_alu instid0(VALU_DEP_2)
	v_and_or_b32 v9, v9, 7, v13
	s_and_b32 s0, s0, vcc_lo
	s_delay_alu instid0(VALU_DEP_1) | instid1(SALU_CYCLE_1)
	v_cndmask_b32_e64 v9, v9, 0, s0
.LBB5_130:                              ;   in Loop: Header=BB5_32 Depth=1
	s_or_b32 exec_lo, exec_lo, s16
.LBB5_131:                              ;   in Loop: Header=BB5_32 Depth=1
	s_and_not1_saveexec_b32 s0, s15
	s_delay_alu instid0(SALU_CYCLE_1)
	s_or_b32 exec_lo, exec_lo, s0
.LBB5_132:                              ;   in Loop: Header=BB5_32 Depth=1
	s_and_not1_saveexec_b32 s0, s14
	s_delay_alu instid0(SALU_CYCLE_1) | instskip(SKIP_3) | instid1(VALU_DEP_2)
	s_or_b32 exec_lo, exec_lo, s0
	v_mul_f32_e32 v10, v11, v37
	v_add_nc_u32_e32 v14, 9, v38
	s_mov_b32 s0, exec_lo
	v_mul_f32_e32 v10, v10, v15
	global_store_b8 v14, v9, s[2:3]
	v_mul_f32_e32 v10, v39, v10
	s_delay_alu instid0(VALU_DEP_1) | instskip(NEXT) | instid1(VALU_DEP_1)
	v_minmax_f32 v13, v10, s13, 0xc3600000
	v_and_b32_e32 v33, 0x7f800000, v13
	v_lshrrev_b32_e32 v11, 24, v13
	s_delay_alu instid0(VALU_DEP_1) | instskip(NEXT) | instid1(VALU_DEP_3)
	v_or_b32_e32 v10, 0x7f, v11
	v_cmpx_ne_u64_e32 0x7f800000, v[33:34]
	s_xor_b32 s14, exec_lo, s0
	s_cbranch_execz .LBB5_142
; %bb.133:                              ;   in Loop: Header=BB5_32 Depth=1
	v_and_b32_e32 v33, 0x7fffffff, v13
	s_mov_b32 s0, exec_lo
	s_delay_alu instid0(VALU_DEP_1)
	v_cmpx_gt_u64_e32 0x43700001, v[33:34]
	s_xor_b32 s15, exec_lo, s0
	s_cbranch_execz .LBB5_141
; %bb.134:                              ;   in Loop: Header=BB5_32 Depth=1
	v_mov_b32_e32 v10, 0
	s_mov_b32 s16, exec_lo
	v_cmpx_ne_u32_e32 0, v13
	s_cbranch_execz .LBB5_140
; %bb.135:                              ;   in Loop: Header=BB5_32 Depth=1
	v_bfe_u32 v15, v13, 23, 8
	v_and_b32_e32 v10, 0x7fffff, v13
	s_delay_alu instid0(VALU_DEP_2) | instskip(SKIP_2) | instid1(VALU_DEP_3)
	v_sub_nc_u32_e64 v9, 0x78, v15 clamp
	v_cmp_eq_u32_e32 vcc_lo, 0, v15
	v_add_nc_u32_e32 v15, 0xffffff89, v15
	v_cndmask_b32_e64 v19, v9, 0x77, vcc_lo
	v_or_b32_e32 v9, 0x800000, v10
	s_delay_alu instid0(VALU_DEP_2) | instskip(NEXT) | instid1(VALU_DEP_2)
	v_add_nc_u32_e32 v13, 20, v19
	v_cndmask_b32_e32 v33, v9, v10, vcc_lo
	s_delay_alu instid0(VALU_DEP_2) | instskip(SKIP_1) | instid1(VALU_DEP_3)
	v_lshlrev_b64 v[9:10], v13, -1
	v_dual_mov_b32 v10, v34 :: v_dual_add_nc_u32 v13, 19, v19
	v_lshrrev_b64 v[17:18], v19, v[33:34]
	s_delay_alu instid0(VALU_DEP_3) | instskip(NEXT) | instid1(VALU_DEP_3)
	v_not_b32_e32 v9, v9
	v_lshlrev_b64 v[13:14], v13, 1
	s_delay_alu instid0(VALU_DEP_2) | instskip(NEXT) | instid1(VALU_DEP_4)
	v_and_b32_e32 v9, v33, v9
	v_and_b32_e32 v33, 0x100000, v17
	s_delay_alu instid0(VALU_DEP_2) | instskip(NEXT) | instid1(VALU_DEP_2)
	v_cmp_eq_u64_e64 s0, v[9:10], v[13:14]
	v_cmp_eq_u64_e64 s1, 0, v[33:34]
	v_cndmask_b32_e64 v9, v15, 0xffffff8a, vcc_lo
	v_lshrrev_b32_e32 v10, 23, v17
	s_delay_alu instid0(VALU_DEP_3) | instskip(NEXT) | instid1(VALU_DEP_1)
	s_and_b32 vcc_lo, s1, s0
	v_add3_u32 v14, v9, v19, v10
	v_subrev_co_ci_u32_e32 v13, vcc_lo, 0, v17, vcc_lo
	s_mov_b32 s0, exec_lo
	s_delay_alu instid0(VALU_DEP_2) | instskip(NEXT) | instid1(VALU_DEP_2)
	v_add_nc_u32_e32 v15, -1, v14
	v_and_b32_e32 v9, 0xfffff, v13
                                        ; implicit-def: $vgpr13
	s_delay_alu instid0(VALU_DEP_1) | instskip(SKIP_1) | instid1(VALU_DEP_4)
	v_add_co_u32 v9, vcc_lo, v9, v17
	v_add_co_ci_u32_e32 v10, vcc_lo, 0, v18, vcc_lo
	v_cmpx_ne_u32_e32 0, v15
	s_xor_b32 s0, exec_lo, s0
; %bb.136:                              ;   in Loop: Header=BB5_32 Depth=1
	s_delay_alu instid0(VALU_DEP_3) | instskip(SKIP_1) | instid1(VALU_DEP_2)
	v_and_b32_e32 v33, 0x1000000, v9
	v_bfe_u32 v13, v9, 24, 1
	v_cmp_eq_u64_e32 vcc_lo, 0, v[33:34]
	s_delay_alu instid0(VALU_DEP_2)
	v_lshrrev_b64 v[9:10], v13, v[9:10]
	v_cndmask_b32_e32 v13, v14, v15, vcc_lo
; %bb.137:                              ;   in Loop: Header=BB5_32 Depth=1
	s_and_not1_saveexec_b32 s0, s0
; %bb.138:                              ;   in Loop: Header=BB5_32 Depth=1
	s_delay_alu instid0(VALU_DEP_2)
	v_bfe_u32 v13, v9, 23, 1
; %bb.139:                              ;   in Loop: Header=BB5_32 Depth=1
	s_or_b32 exec_lo, exec_lo, s0
	s_delay_alu instid0(VALU_DEP_3) | instskip(NEXT) | instid1(VALU_DEP_2)
	v_lshrrev_b64 v[9:10], 20, v[9:10]
	v_cmp_gt_i32_e32 vcc_lo, 16, v13
	v_and_b32_e32 v11, 0x80, v11
	v_min_i32_e32 v14, 15, v13
	v_cmp_eq_u32_e64 s0, 0, v13
	v_dual_cndmask_b32 v10, 0, v10 :: v_dual_cndmask_b32 v9, 7, v9
	s_delay_alu instid0(VALU_DEP_3) | instskip(NEXT) | instid1(VALU_DEP_2)
	v_lshl_or_b32 v11, v14, 3, v11
	v_cmp_eq_u64_e32 vcc_lo, 0, v[9:10]
	s_delay_alu instid0(VALU_DEP_2)
	v_and_or_b32 v9, v9, 7, v11
	s_and_b32 s0, s0, vcc_lo
	s_delay_alu instid0(VALU_DEP_1) | instid1(SALU_CYCLE_1)
	v_cndmask_b32_e64 v10, v9, 0, s0
.LBB5_140:                              ;   in Loop: Header=BB5_32 Depth=1
	s_or_b32 exec_lo, exec_lo, s16
.LBB5_141:                              ;   in Loop: Header=BB5_32 Depth=1
	s_and_not1_saveexec_b32 s0, s15
	s_delay_alu instid0(SALU_CYCLE_1)
	s_or_b32 exec_lo, exec_lo, s0
.LBB5_142:                              ;   in Loop: Header=BB5_32 Depth=1
	s_and_not1_saveexec_b32 s0, s14
	s_delay_alu instid0(SALU_CYCLE_1) | instskip(SKIP_3) | instid1(VALU_DEP_2)
	s_or_b32 exec_lo, exec_lo, s0
	v_mul_f32_e32 v9, v12, v37
	v_add_nc_u32_e32 v13, 10, v38
	s_mov_b32 s0, exec_lo
	v_mul_f32_e32 v9, v9, v16
	global_store_b8 v13, v10, s[2:3]
	v_mul_f32_e32 v9, v39, v9
	s_delay_alu instid0(VALU_DEP_1) | instskip(NEXT) | instid1(VALU_DEP_1)
	v_minmax_f32 v12, v9, s13, 0xc3600000
	v_lshrrev_b32_e32 v11, 24, v12
	v_and_b32_e32 v33, 0x7f800000, v12
	s_delay_alu instid0(VALU_DEP_2) | instskip(NEXT) | instid1(VALU_DEP_2)
	v_or_b32_e32 v9, 0x7f, v11
	v_cmpx_ne_u64_e32 0x7f800000, v[33:34]
	s_xor_b32 s14, exec_lo, s0
	s_cbranch_execz .LBB5_152
; %bb.143:                              ;   in Loop: Header=BB5_32 Depth=1
	v_and_b32_e32 v33, 0x7fffffff, v12
	s_mov_b32 s0, exec_lo
	s_delay_alu instid0(VALU_DEP_1)
	v_cmpx_gt_u64_e32 0x43700001, v[33:34]
	s_xor_b32 s15, exec_lo, s0
	s_cbranch_execz .LBB5_151
; %bb.144:                              ;   in Loop: Header=BB5_32 Depth=1
	v_mov_b32_e32 v9, 0
	s_mov_b32 s16, exec_lo
	v_cmpx_ne_u32_e32 0, v12
	s_cbranch_execz .LBB5_150
; %bb.145:                              ;   in Loop: Header=BB5_32 Depth=1
	v_bfe_u32 v14, v12, 23, 8
	v_and_b32_e32 v10, 0x7fffff, v12
	s_delay_alu instid0(VALU_DEP_2) | instskip(SKIP_2) | instid1(VALU_DEP_3)
	v_sub_nc_u32_e64 v9, 0x78, v14 clamp
	v_cmp_eq_u32_e32 vcc_lo, 0, v14
	v_add_nc_u32_e32 v14, 0xffffff89, v14
	v_cndmask_b32_e64 v17, v9, 0x77, vcc_lo
	v_or_b32_e32 v9, 0x800000, v10
	s_delay_alu instid0(VALU_DEP_1) | instskip(NEXT) | instid1(VALU_DEP_1)
	v_dual_cndmask_b32 v33, v9, v10 :: v_dual_add_nc_u32 v12, 20, v17
	v_lshlrev_b64 v[9:10], v12, -1
	v_add_nc_u32_e32 v12, 19, v17
	s_delay_alu instid0(VALU_DEP_3) | instskip(NEXT) | instid1(VALU_DEP_2)
	v_lshrrev_b64 v[15:16], v17, v[33:34]
	v_lshlrev_b64 v[12:13], v12, 1
	s_delay_alu instid0(VALU_DEP_4) | instskip(NEXT) | instid1(VALU_DEP_1)
	v_not_b32_e32 v9, v9
	v_dual_mov_b32 v10, v34 :: v_dual_and_b32 v9, v33, v9
	s_delay_alu instid0(VALU_DEP_4) | instskip(NEXT) | instid1(VALU_DEP_2)
	v_and_b32_e32 v33, 0x100000, v15
	v_cmp_eq_u64_e64 s0, v[9:10], v[12:13]
	s_delay_alu instid0(VALU_DEP_2) | instskip(SKIP_2) | instid1(VALU_DEP_3)
	v_cmp_eq_u64_e64 s1, 0, v[33:34]
	v_cndmask_b32_e64 v9, v14, 0xffffff8a, vcc_lo
	v_lshrrev_b32_e32 v10, 23, v15
	s_and_b32 vcc_lo, s1, s0
	s_delay_alu instid0(VALU_DEP_1) | instskip(SKIP_2) | instid1(VALU_DEP_2)
	v_add3_u32 v13, v9, v17, v10
	v_subrev_co_ci_u32_e32 v12, vcc_lo, 0, v15, vcc_lo
	s_mov_b32 s0, exec_lo
	v_add_nc_u32_e32 v14, -1, v13
	s_delay_alu instid0(VALU_DEP_2) | instskip(NEXT) | instid1(VALU_DEP_1)
	v_and_b32_e32 v9, 0xfffff, v12
                                        ; implicit-def: $vgpr12
	v_add_co_u32 v9, vcc_lo, v9, v15
	v_add_co_ci_u32_e32 v10, vcc_lo, 0, v16, vcc_lo
	s_delay_alu instid0(VALU_DEP_4)
	v_cmpx_ne_u32_e32 0, v14
	s_xor_b32 s0, exec_lo, s0
; %bb.146:                              ;   in Loop: Header=BB5_32 Depth=1
	s_delay_alu instid0(VALU_DEP_3) | instskip(SKIP_1) | instid1(VALU_DEP_2)
	v_and_b32_e32 v33, 0x1000000, v9
	v_bfe_u32 v12, v9, 24, 1
	v_cmp_eq_u64_e32 vcc_lo, 0, v[33:34]
	s_delay_alu instid0(VALU_DEP_2)
	v_lshrrev_b64 v[9:10], v12, v[9:10]
	v_cndmask_b32_e32 v12, v13, v14, vcc_lo
; %bb.147:                              ;   in Loop: Header=BB5_32 Depth=1
	s_and_not1_saveexec_b32 s0, s0
; %bb.148:                              ;   in Loop: Header=BB5_32 Depth=1
	s_delay_alu instid0(VALU_DEP_2)
	v_bfe_u32 v12, v9, 23, 1
; %bb.149:                              ;   in Loop: Header=BB5_32 Depth=1
	s_or_b32 exec_lo, exec_lo, s0
	s_delay_alu instid0(VALU_DEP_3) | instskip(NEXT) | instid1(VALU_DEP_2)
	v_lshrrev_b64 v[9:10], 20, v[9:10]
	v_cmp_gt_i32_e32 vcc_lo, 16, v12
	v_and_b32_e32 v11, 0x80, v11
	v_min_i32_e32 v13, 15, v12
	v_cmp_eq_u32_e64 s0, 0, v12
	v_dual_cndmask_b32 v10, 0, v10 :: v_dual_cndmask_b32 v9, 7, v9
	s_delay_alu instid0(VALU_DEP_3) | instskip(NEXT) | instid1(VALU_DEP_2)
	v_lshl_or_b32 v11, v13, 3, v11
	v_cmp_eq_u64_e32 vcc_lo, 0, v[9:10]
	s_delay_alu instid0(VALU_DEP_2)
	v_and_or_b32 v9, v9, 7, v11
	s_and_b32 s0, s0, vcc_lo
	s_delay_alu instid0(VALU_DEP_1) | instid1(SALU_CYCLE_1)
	v_cndmask_b32_e64 v9, v9, 0, s0
.LBB5_150:                              ;   in Loop: Header=BB5_32 Depth=1
	s_or_b32 exec_lo, exec_lo, s16
.LBB5_151:                              ;   in Loop: Header=BB5_32 Depth=1
	s_and_not1_saveexec_b32 s0, s15
	s_delay_alu instid0(SALU_CYCLE_1)
	s_or_b32 exec_lo, exec_lo, s0
.LBB5_152:                              ;   in Loop: Header=BB5_32 Depth=1
	s_and_not1_saveexec_b32 s0, s14
	s_delay_alu instid0(SALU_CYCLE_1) | instskip(SKIP_3) | instid1(VALU_DEP_2)
	s_or_b32 exec_lo, exec_lo, s0
	v_mul_f32_e32 v1, v1, v37
	v_add_nc_u32_e32 v11, 11, v38
	s_mov_b32 s0, exec_lo
	v_mul_f32_e32 v1, v1, v5
	global_store_b8 v11, v9, s[2:3]
	v_mul_f32_e32 v1, v39, v1
	s_delay_alu instid0(VALU_DEP_1) | instskip(NEXT) | instid1(VALU_DEP_1)
	v_minmax_f32 v5, v1, s13, 0xc3600000
	v_lshrrev_b32_e32 v1, 24, v5
	v_and_b32_e32 v33, 0x7f800000, v5
	s_delay_alu instid0(VALU_DEP_2) | instskip(NEXT) | instid1(VALU_DEP_2)
	v_or_b32_e32 v10, 0x7f, v1
	v_cmpx_ne_u64_e32 0x7f800000, v[33:34]
	s_xor_b32 s14, exec_lo, s0
	s_cbranch_execz .LBB5_162
; %bb.153:                              ;   in Loop: Header=BB5_32 Depth=1
	v_and_b32_e32 v33, 0x7fffffff, v5
	s_mov_b32 s0, exec_lo
	s_delay_alu instid0(VALU_DEP_1)
	v_cmpx_gt_u64_e32 0x43700001, v[33:34]
	s_xor_b32 s15, exec_lo, s0
	s_cbranch_execz .LBB5_161
; %bb.154:                              ;   in Loop: Header=BB5_32 Depth=1
	v_mov_b32_e32 v10, 0
	s_mov_b32 s16, exec_lo
	v_cmpx_ne_u32_e32 0, v5
	s_cbranch_execz .LBB5_160
; %bb.155:                              ;   in Loop: Header=BB5_32 Depth=1
	v_bfe_u32 v15, v5, 23, 8
	v_and_b32_e32 v5, 0x7fffff, v5
	s_delay_alu instid0(VALU_DEP_2) | instskip(SKIP_1) | instid1(VALU_DEP_2)
	v_sub_nc_u32_e64 v9, 0x78, v15 clamp
	v_cmp_eq_u32_e32 vcc_lo, 0, v15
	v_cndmask_b32_e64 v16, v9, 0x77, vcc_lo
	s_delay_alu instid0(VALU_DEP_4) | instskip(NEXT) | instid1(VALU_DEP_1)
	v_or_b32_e32 v9, 0x800000, v5
	v_dual_cndmask_b32 v33, v9, v5 :: v_dual_add_nc_u32 v10, 20, v16
	v_add_nc_u32_e32 v5, 19, v16
	s_delay_alu instid0(VALU_DEP_2) | instskip(NEXT) | instid1(VALU_DEP_3)
	v_lshlrev_b64 v[9:10], v10, -1
	v_lshrrev_b64 v[13:14], v16, v[33:34]
	s_delay_alu instid0(VALU_DEP_3) | instskip(SKIP_1) | instid1(VALU_DEP_4)
	v_lshlrev_b64 v[11:12], v5, 1
	v_dual_mov_b32 v10, v34 :: v_dual_add_nc_u32 v5, 0xffffff89, v15
	v_not_b32_e32 v9, v9
	s_delay_alu instid0(VALU_DEP_2) | instskip(NEXT) | instid1(VALU_DEP_2)
	v_cndmask_b32_e64 v5, v5, 0xffffff8a, vcc_lo
	v_and_b32_e32 v9, v33, v9
	v_and_b32_e32 v33, 0x100000, v13
	s_delay_alu instid0(VALU_DEP_2) | instskip(NEXT) | instid1(VALU_DEP_2)
	v_cmp_eq_u64_e64 s0, v[9:10], v[11:12]
	v_cmp_eq_u64_e64 s1, 0, v[33:34]
	v_lshrrev_b32_e32 v9, 23, v13
	s_delay_alu instid0(VALU_DEP_1) | instskip(NEXT) | instid1(VALU_DEP_3)
	v_add3_u32 v11, v5, v16, v9
	s_and_b32 vcc_lo, s1, s0
	s_mov_b32 s0, exec_lo
	v_subrev_co_ci_u32_e32 v10, vcc_lo, 0, v13, vcc_lo
	s_delay_alu instid0(VALU_DEP_2) | instskip(NEXT) | instid1(VALU_DEP_2)
	v_add_nc_u32_e32 v12, -1, v11
	v_and_b32_e32 v5, 0xfffff, v10
	s_delay_alu instid0(VALU_DEP_1) | instskip(SKIP_1) | instid1(VALU_DEP_4)
	v_add_co_u32 v9, vcc_lo, v5, v13
	v_add_co_ci_u32_e32 v10, vcc_lo, 0, v14, vcc_lo
                                        ; implicit-def: $vgpr5
	v_cmpx_ne_u32_e32 0, v12
	s_xor_b32 s0, exec_lo, s0
; %bb.156:                              ;   in Loop: Header=BB5_32 Depth=1
	s_delay_alu instid0(VALU_DEP_3) | instskip(SKIP_1) | instid1(VALU_DEP_2)
	v_and_b32_e32 v33, 0x1000000, v9
	v_bfe_u32 v5, v9, 24, 1
	v_cmp_eq_u64_e32 vcc_lo, 0, v[33:34]
	s_delay_alu instid0(VALU_DEP_2)
	v_lshrrev_b64 v[9:10], v5, v[9:10]
	v_cndmask_b32_e32 v5, v11, v12, vcc_lo
; %bb.157:                              ;   in Loop: Header=BB5_32 Depth=1
	s_and_not1_saveexec_b32 s0, s0
; %bb.158:                              ;   in Loop: Header=BB5_32 Depth=1
	s_delay_alu instid0(VALU_DEP_2)
	v_bfe_u32 v5, v9, 23, 1
; %bb.159:                              ;   in Loop: Header=BB5_32 Depth=1
	s_or_b32 exec_lo, exec_lo, s0
	s_delay_alu instid0(VALU_DEP_3) | instskip(NEXT) | instid1(VALU_DEP_2)
	v_lshrrev_b64 v[9:10], 20, v[9:10]
	v_cmp_gt_i32_e32 vcc_lo, 16, v5
	v_and_b32_e32 v1, 0x80, v1
	v_min_i32_e32 v11, 15, v5
	v_cmp_eq_u32_e64 s0, 0, v5
	v_dual_cndmask_b32 v10, 0, v10 :: v_dual_cndmask_b32 v9, 7, v9
	s_delay_alu instid0(VALU_DEP_3) | instskip(NEXT) | instid1(VALU_DEP_2)
	v_lshl_or_b32 v1, v11, 3, v1
	v_cmp_eq_u64_e32 vcc_lo, 0, v[9:10]
	s_delay_alu instid0(VALU_DEP_2)
	v_and_or_b32 v1, v9, 7, v1
	s_and_b32 s0, s0, vcc_lo
	s_delay_alu instid0(VALU_DEP_1) | instid1(SALU_CYCLE_1)
	v_cndmask_b32_e64 v10, v1, 0, s0
.LBB5_160:                              ;   in Loop: Header=BB5_32 Depth=1
	s_or_b32 exec_lo, exec_lo, s16
.LBB5_161:                              ;   in Loop: Header=BB5_32 Depth=1
	s_and_not1_saveexec_b32 s0, s15
	s_delay_alu instid0(SALU_CYCLE_1)
	s_or_b32 exec_lo, exec_lo, s0
.LBB5_162:                              ;   in Loop: Header=BB5_32 Depth=1
	s_and_not1_saveexec_b32 s0, s14
	s_delay_alu instid0(SALU_CYCLE_1) | instskip(SKIP_2) | instid1(VALU_DEP_1)
	s_or_b32 exec_lo, exec_lo, s0
	v_mul_f32_e32 v1, v2, v37
	s_mov_b32 s0, exec_lo
	v_mul_f32_e32 v1, v1, v6
	s_delay_alu instid0(VALU_DEP_1) | instskip(SKIP_2) | instid1(VALU_DEP_1)
	v_dual_mul_f32 v1, v39, v1 :: v_dual_add_nc_u32 v6, 12, v38
	global_store_b8 v6, v10, s[2:3]
	v_minmax_f32 v2, v1, s13, 0xc3600000
	v_lshrrev_b32_e32 v5, 24, v2
	v_and_b32_e32 v33, 0x7f800000, v2
	s_delay_alu instid0(VALU_DEP_2) | instskip(NEXT) | instid1(VALU_DEP_2)
	v_or_b32_e32 v1, 0x7f, v5
	v_cmpx_ne_u64_e32 0x7f800000, v[33:34]
	s_xor_b32 s14, exec_lo, s0
	s_cbranch_execz .LBB5_172
; %bb.163:                              ;   in Loop: Header=BB5_32 Depth=1
	v_and_b32_e32 v33, 0x7fffffff, v2
	s_mov_b32 s0, exec_lo
	s_delay_alu instid0(VALU_DEP_1)
	v_cmpx_gt_u64_e32 0x43700001, v[33:34]
	s_xor_b32 s15, exec_lo, s0
	s_cbranch_execz .LBB5_171
; %bb.164:                              ;   in Loop: Header=BB5_32 Depth=1
	v_mov_b32_e32 v1, 0
	s_mov_b32 s16, exec_lo
	v_cmpx_ne_u32_e32 0, v2
	s_cbranch_execz .LBB5_170
; %bb.165:                              ;   in Loop: Header=BB5_32 Depth=1
	v_bfe_u32 v6, v2, 23, 8
	v_and_b32_e32 v2, 0x7fffff, v2
	s_delay_alu instid0(VALU_DEP_2) | instskip(SKIP_2) | instid1(VALU_DEP_3)
	v_sub_nc_u32_e64 v1, 0x78, v6 clamp
	v_cmp_eq_u32_e32 vcc_lo, 0, v6
	v_add_nc_u32_e32 v6, 0xffffff89, v6
	v_cndmask_b32_e64 v13, v1, 0x77, vcc_lo
	v_or_b32_e32 v1, 0x800000, v2
	s_delay_alu instid0(VALU_DEP_2) | instskip(NEXT) | instid1(VALU_DEP_2)
	v_add_nc_u32_e32 v9, 20, v13
	v_cndmask_b32_e32 v33, v1, v2, vcc_lo
	s_delay_alu instid0(VALU_DEP_2) | instskip(SKIP_1) | instid1(VALU_DEP_3)
	v_lshlrev_b64 v[1:2], v9, -1
	v_add_nc_u32_e32 v9, 19, v13
	v_lshrrev_b64 v[11:12], v13, v[33:34]
	v_mov_b32_e32 v2, v34
	s_delay_alu instid0(VALU_DEP_3) | instskip(SKIP_1) | instid1(VALU_DEP_1)
	v_lshlrev_b64 v[9:10], v9, 1
	v_not_b32_e32 v1, v1
	v_and_b32_e32 v1, v33, v1
	v_and_b32_e32 v33, 0x100000, v11
	s_delay_alu instid0(VALU_DEP_2) | instskip(NEXT) | instid1(VALU_DEP_2)
	v_cmp_eq_u64_e64 s0, v[1:2], v[9:10]
	v_cmp_eq_u64_e64 s1, 0, v[33:34]
	v_cndmask_b32_e64 v1, v6, 0xffffff8a, vcc_lo
	v_lshrrev_b32_e32 v2, 23, v11
	s_delay_alu instid0(VALU_DEP_3) | instskip(NEXT) | instid1(VALU_DEP_1)
	s_and_b32 vcc_lo, s1, s0
	v_add3_u32 v9, v1, v13, v2
	v_subrev_co_ci_u32_e32 v6, vcc_lo, 0, v11, vcc_lo
	s_mov_b32 s0, exec_lo
	s_delay_alu instid0(VALU_DEP_2) | instskip(NEXT) | instid1(VALU_DEP_2)
	v_add_nc_u32_e32 v10, -1, v9
	v_and_b32_e32 v1, 0xfffff, v6
                                        ; implicit-def: $vgpr6
	s_delay_alu instid0(VALU_DEP_1) | instskip(SKIP_1) | instid1(VALU_DEP_4)
	v_add_co_u32 v1, vcc_lo, v1, v11
	v_add_co_ci_u32_e32 v2, vcc_lo, 0, v12, vcc_lo
	v_cmpx_ne_u32_e32 0, v10
	s_xor_b32 s0, exec_lo, s0
; %bb.166:                              ;   in Loop: Header=BB5_32 Depth=1
	s_delay_alu instid0(VALU_DEP_3) | instskip(SKIP_1) | instid1(VALU_DEP_2)
	v_and_b32_e32 v33, 0x1000000, v1
	v_bfe_u32 v6, v1, 24, 1
	v_cmp_eq_u64_e32 vcc_lo, 0, v[33:34]
	s_delay_alu instid0(VALU_DEP_2)
	v_lshrrev_b64 v[1:2], v6, v[1:2]
	v_cndmask_b32_e32 v6, v9, v10, vcc_lo
; %bb.167:                              ;   in Loop: Header=BB5_32 Depth=1
	s_and_not1_saveexec_b32 s0, s0
; %bb.168:                              ;   in Loop: Header=BB5_32 Depth=1
	s_delay_alu instid0(VALU_DEP_2)
	v_bfe_u32 v6, v1, 23, 1
; %bb.169:                              ;   in Loop: Header=BB5_32 Depth=1
	s_or_b32 exec_lo, exec_lo, s0
	s_delay_alu instid0(VALU_DEP_3) | instskip(NEXT) | instid1(VALU_DEP_2)
	v_lshrrev_b64 v[1:2], 20, v[1:2]
	v_cmp_gt_i32_e32 vcc_lo, 16, v6
	v_and_b32_e32 v5, 0x80, v5
	v_min_i32_e32 v9, 15, v6
	v_cmp_eq_u32_e64 s0, 0, v6
	v_dual_cndmask_b32 v2, 0, v2 :: v_dual_cndmask_b32 v1, 7, v1
	s_delay_alu instid0(VALU_DEP_3) | instskip(NEXT) | instid1(VALU_DEP_2)
	v_lshl_or_b32 v5, v9, 3, v5
	v_cmp_eq_u64_e32 vcc_lo, 0, v[1:2]
	s_delay_alu instid0(VALU_DEP_2)
	v_and_or_b32 v1, v1, 7, v5
	s_and_b32 s0, s0, vcc_lo
	s_delay_alu instid0(VALU_DEP_1) | instid1(SALU_CYCLE_1)
	v_cndmask_b32_e64 v1, v1, 0, s0
.LBB5_170:                              ;   in Loop: Header=BB5_32 Depth=1
	s_or_b32 exec_lo, exec_lo, s16
.LBB5_171:                              ;   in Loop: Header=BB5_32 Depth=1
	s_and_not1_saveexec_b32 s0, s15
	s_delay_alu instid0(SALU_CYCLE_1)
	s_or_b32 exec_lo, exec_lo, s0
.LBB5_172:                              ;   in Loop: Header=BB5_32 Depth=1
	s_and_not1_saveexec_b32 s0, s14
	s_delay_alu instid0(SALU_CYCLE_1) | instskip(SKIP_3) | instid1(VALU_DEP_2)
	s_or_b32 exec_lo, exec_lo, s0
	v_mul_f32_e32 v2, v3, v37
	v_add_nc_u32_e32 v6, 13, v38
	s_mov_b32 s0, exec_lo
	v_mul_f32_e32 v2, v2, v7
	global_store_b8 v6, v1, s[2:3]
	v_mul_f32_e32 v2, v39, v2
	s_delay_alu instid0(VALU_DEP_1) | instskip(NEXT) | instid1(VALU_DEP_1)
	v_minmax_f32 v5, v2, s13, 0xc3600000
	v_and_b32_e32 v33, 0x7f800000, v5
	v_lshrrev_b32_e32 v3, 24, v5
	s_delay_alu instid0(VALU_DEP_1) | instskip(NEXT) | instid1(VALU_DEP_3)
	v_or_b32_e32 v2, 0x7f, v3
	v_cmpx_ne_u64_e32 0x7f800000, v[33:34]
	s_xor_b32 s14, exec_lo, s0
	s_cbranch_execz .LBB5_182
; %bb.173:                              ;   in Loop: Header=BB5_32 Depth=1
	v_and_b32_e32 v33, 0x7fffffff, v5
	s_mov_b32 s0, exec_lo
	s_delay_alu instid0(VALU_DEP_1)
	v_cmpx_gt_u64_e32 0x43700001, v[33:34]
	s_xor_b32 s15, exec_lo, s0
	s_cbranch_execz .LBB5_181
; %bb.174:                              ;   in Loop: Header=BB5_32 Depth=1
	v_mov_b32_e32 v2, 0
	s_mov_b32 s16, exec_lo
	v_cmpx_ne_u32_e32 0, v5
	s_cbranch_execz .LBB5_180
; %bb.175:                              ;   in Loop: Header=BB5_32 Depth=1
	v_bfe_u32 v7, v5, 23, 8
	v_and_b32_e32 v2, 0x7fffff, v5
	s_delay_alu instid0(VALU_DEP_2) | instskip(SKIP_2) | instid1(VALU_DEP_3)
	v_sub_nc_u32_e64 v1, 0x78, v7 clamp
	v_cmp_eq_u32_e32 vcc_lo, 0, v7
	v_add_nc_u32_e32 v7, 0xffffff89, v7
	v_cndmask_b32_e64 v11, v1, 0x77, vcc_lo
	v_or_b32_e32 v1, 0x800000, v2
	s_delay_alu instid0(VALU_DEP_2) | instskip(NEXT) | instid1(VALU_DEP_2)
	v_add_nc_u32_e32 v5, 20, v11
	v_cndmask_b32_e32 v33, v1, v2, vcc_lo
	s_delay_alu instid0(VALU_DEP_2) | instskip(SKIP_1) | instid1(VALU_DEP_3)
	v_lshlrev_b64 v[1:2], v5, -1
	v_dual_mov_b32 v2, v34 :: v_dual_add_nc_u32 v5, 19, v11
	v_lshrrev_b64 v[9:10], v11, v[33:34]
	s_delay_alu instid0(VALU_DEP_3) | instskip(NEXT) | instid1(VALU_DEP_3)
	v_not_b32_e32 v1, v1
	v_lshlrev_b64 v[5:6], v5, 1
	s_delay_alu instid0(VALU_DEP_2) | instskip(NEXT) | instid1(VALU_DEP_4)
	v_and_b32_e32 v1, v33, v1
	v_and_b32_e32 v33, 0x100000, v9
	s_delay_alu instid0(VALU_DEP_2) | instskip(NEXT) | instid1(VALU_DEP_2)
	v_cmp_eq_u64_e64 s0, v[1:2], v[5:6]
	v_cmp_eq_u64_e64 s1, 0, v[33:34]
	v_cndmask_b32_e64 v1, v7, 0xffffff8a, vcc_lo
	v_lshrrev_b32_e32 v2, 23, v9
	s_delay_alu instid0(VALU_DEP_3) | instskip(NEXT) | instid1(VALU_DEP_1)
	s_and_b32 vcc_lo, s1, s0
	v_add3_u32 v6, v1, v11, v2
	v_subrev_co_ci_u32_e32 v5, vcc_lo, 0, v9, vcc_lo
	s_mov_b32 s0, exec_lo
	s_delay_alu instid0(VALU_DEP_2) | instskip(NEXT) | instid1(VALU_DEP_2)
	v_add_nc_u32_e32 v7, -1, v6
	v_and_b32_e32 v1, 0xfffff, v5
                                        ; implicit-def: $vgpr5
	s_delay_alu instid0(VALU_DEP_1) | instskip(SKIP_1) | instid1(VALU_DEP_4)
	v_add_co_u32 v1, vcc_lo, v1, v9
	v_add_co_ci_u32_e32 v2, vcc_lo, 0, v10, vcc_lo
	v_cmpx_ne_u32_e32 0, v7
	s_xor_b32 s0, exec_lo, s0
; %bb.176:                              ;   in Loop: Header=BB5_32 Depth=1
	s_delay_alu instid0(VALU_DEP_3) | instskip(SKIP_1) | instid1(VALU_DEP_2)
	v_and_b32_e32 v33, 0x1000000, v1
	v_bfe_u32 v5, v1, 24, 1
	v_cmp_eq_u64_e32 vcc_lo, 0, v[33:34]
	s_delay_alu instid0(VALU_DEP_2)
	v_lshrrev_b64 v[1:2], v5, v[1:2]
	v_cndmask_b32_e32 v5, v6, v7, vcc_lo
; %bb.177:                              ;   in Loop: Header=BB5_32 Depth=1
	s_and_not1_saveexec_b32 s0, s0
; %bb.178:                              ;   in Loop: Header=BB5_32 Depth=1
	s_delay_alu instid0(VALU_DEP_2)
	v_bfe_u32 v5, v1, 23, 1
; %bb.179:                              ;   in Loop: Header=BB5_32 Depth=1
	s_or_b32 exec_lo, exec_lo, s0
	s_delay_alu instid0(VALU_DEP_3) | instskip(NEXT) | instid1(VALU_DEP_2)
	v_lshrrev_b64 v[1:2], 20, v[1:2]
	v_cmp_gt_i32_e32 vcc_lo, 16, v5
	v_and_b32_e32 v3, 0x80, v3
	v_min_i32_e32 v6, 15, v5
	v_cmp_eq_u32_e64 s0, 0, v5
	v_dual_cndmask_b32 v2, 0, v2 :: v_dual_cndmask_b32 v1, 7, v1
	s_delay_alu instid0(VALU_DEP_3) | instskip(NEXT) | instid1(VALU_DEP_2)
	v_lshl_or_b32 v3, v6, 3, v3
	v_cmp_eq_u64_e32 vcc_lo, 0, v[1:2]
	s_delay_alu instid0(VALU_DEP_2)
	v_and_or_b32 v1, v1, 7, v3
	s_and_b32 s0, s0, vcc_lo
	s_delay_alu instid0(VALU_DEP_1) | instid1(SALU_CYCLE_1)
	v_cndmask_b32_e64 v2, v1, 0, s0
.LBB5_180:                              ;   in Loop: Header=BB5_32 Depth=1
	s_or_b32 exec_lo, exec_lo, s16
.LBB5_181:                              ;   in Loop: Header=BB5_32 Depth=1
	s_and_not1_saveexec_b32 s0, s15
	s_delay_alu instid0(SALU_CYCLE_1)
	s_or_b32 exec_lo, exec_lo, s0
.LBB5_182:                              ;   in Loop: Header=BB5_32 Depth=1
	s_and_not1_saveexec_b32 s0, s14
	s_delay_alu instid0(SALU_CYCLE_1) | instskip(SKIP_3) | instid1(VALU_DEP_2)
	s_or_b32 exec_lo, exec_lo, s0
	v_mul_f32_e32 v1, v4, v37
	v_add_nc_u32_e32 v5, 14, v38
	s_mov_b32 s0, exec_lo
	v_mul_f32_e32 v1, v1, v8
	global_store_b8 v5, v2, s[2:3]
	v_mul_f32_e32 v1, v39, v1
	s_delay_alu instid0(VALU_DEP_1) | instskip(NEXT) | instid1(VALU_DEP_1)
	v_minmax_f32 v4, v1, s13, 0xc3600000
	v_lshrrev_b32_e32 v3, 24, v4
	v_and_b32_e32 v33, 0x7f800000, v4
	s_delay_alu instid0(VALU_DEP_2) | instskip(NEXT) | instid1(VALU_DEP_2)
	v_or_b32_e32 v1, 0x7f, v3
	v_cmpx_ne_u64_e32 0x7f800000, v[33:34]
	s_xor_b32 s14, exec_lo, s0
	s_cbranch_execz .LBB5_31
; %bb.183:                              ;   in Loop: Header=BB5_32 Depth=1
	v_and_b32_e32 v33, 0x7fffffff, v4
	s_mov_b32 s0, exec_lo
	s_delay_alu instid0(VALU_DEP_1)
	v_cmpx_gt_u64_e32 0x43700001, v[33:34]
	s_xor_b32 s15, exec_lo, s0
	s_cbranch_execz .LBB5_30
; %bb.184:                              ;   in Loop: Header=BB5_32 Depth=1
	v_mov_b32_e32 v1, 0
	s_mov_b32 s16, exec_lo
	v_cmpx_ne_u32_e32 0, v4
	s_cbranch_execz .LBB5_29
; %bb.185:                              ;   in Loop: Header=BB5_32 Depth=1
	v_bfe_u32 v6, v4, 23, 8
	v_and_b32_e32 v2, 0x7fffff, v4
	s_delay_alu instid0(VALU_DEP_2) | instskip(SKIP_2) | instid1(VALU_DEP_3)
	v_sub_nc_u32_e64 v1, 0x78, v6 clamp
	v_cmp_eq_u32_e32 vcc_lo, 0, v6
	v_add_nc_u32_e32 v6, 0xffffff89, v6
	v_cndmask_b32_e64 v9, v1, 0x77, vcc_lo
	v_or_b32_e32 v1, 0x800000, v2
	s_delay_alu instid0(VALU_DEP_1) | instskip(NEXT) | instid1(VALU_DEP_1)
	v_dual_cndmask_b32 v33, v1, v2 :: v_dual_add_nc_u32 v4, 20, v9
	v_lshlrev_b64 v[1:2], v4, -1
	v_add_nc_u32_e32 v4, 19, v9
	s_delay_alu instid0(VALU_DEP_3) | instskip(NEXT) | instid1(VALU_DEP_2)
	v_lshrrev_b64 v[7:8], v9, v[33:34]
	v_lshlrev_b64 v[4:5], v4, 1
	s_delay_alu instid0(VALU_DEP_4) | instskip(NEXT) | instid1(VALU_DEP_1)
	v_not_b32_e32 v1, v1
	v_dual_mov_b32 v2, v34 :: v_dual_and_b32 v1, v33, v1
	s_delay_alu instid0(VALU_DEP_4) | instskip(NEXT) | instid1(VALU_DEP_2)
	v_and_b32_e32 v33, 0x100000, v7
	v_cmp_eq_u64_e64 s0, v[1:2], v[4:5]
	s_delay_alu instid0(VALU_DEP_2) | instskip(SKIP_2) | instid1(VALU_DEP_3)
	v_cmp_eq_u64_e64 s1, 0, v[33:34]
	v_cndmask_b32_e64 v1, v6, 0xffffff8a, vcc_lo
	v_lshrrev_b32_e32 v2, 23, v7
	s_and_b32 vcc_lo, s1, s0
	s_delay_alu instid0(VALU_DEP_1) | instskip(SKIP_2) | instid1(VALU_DEP_2)
	v_add3_u32 v5, v1, v9, v2
	v_subrev_co_ci_u32_e32 v4, vcc_lo, 0, v7, vcc_lo
	s_mov_b32 s0, exec_lo
	v_add_nc_u32_e32 v6, -1, v5
	s_delay_alu instid0(VALU_DEP_2) | instskip(NEXT) | instid1(VALU_DEP_1)
	v_and_b32_e32 v1, 0xfffff, v4
                                        ; implicit-def: $vgpr4
	v_add_co_u32 v1, vcc_lo, v1, v7
	v_add_co_ci_u32_e32 v2, vcc_lo, 0, v8, vcc_lo
	s_delay_alu instid0(VALU_DEP_4)
	v_cmpx_ne_u32_e32 0, v6
	s_xor_b32 s0, exec_lo, s0
; %bb.186:                              ;   in Loop: Header=BB5_32 Depth=1
	s_delay_alu instid0(VALU_DEP_3) | instskip(SKIP_1) | instid1(VALU_DEP_2)
	v_and_b32_e32 v33, 0x1000000, v1
	v_bfe_u32 v4, v1, 24, 1
	v_cmp_eq_u64_e32 vcc_lo, 0, v[33:34]
	s_delay_alu instid0(VALU_DEP_2)
	v_lshrrev_b64 v[1:2], v4, v[1:2]
	v_cndmask_b32_e32 v4, v5, v6, vcc_lo
; %bb.187:                              ;   in Loop: Header=BB5_32 Depth=1
	s_and_not1_saveexec_b32 s0, s0
	s_cbranch_execz .LBB5_28
; %bb.188:                              ;   in Loop: Header=BB5_32 Depth=1
	s_delay_alu instid0(VALU_DEP_2)
	v_bfe_u32 v4, v1, 23, 1
	s_branch .LBB5_28
.LBB5_189:
	s_nop 0
	s_sendmsg sendmsg(MSG_DEALLOC_VGPRS)
	s_endpgm
	.section	.rodata,"a",@progbits
	.p2align	6, 0x0
	.amdhsa_kernel _ZN4vllm32rms_norm_static_fp8_quant_kernelIfN3c1015Float8_e4m3fnuzELi16EEEvPT0_PKT_iS7_PKffii
		.amdhsa_group_segment_fixed_size 132
		.amdhsa_private_segment_fixed_size 0
		.amdhsa_kernarg_size 312
		.amdhsa_user_sgpr_count 15
		.amdhsa_user_sgpr_dispatch_ptr 0
		.amdhsa_user_sgpr_queue_ptr 0
		.amdhsa_user_sgpr_kernarg_segment_ptr 1
		.amdhsa_user_sgpr_dispatch_id 0
		.amdhsa_user_sgpr_private_segment_size 0
		.amdhsa_wavefront_size32 1
		.amdhsa_uses_dynamic_stack 0
		.amdhsa_enable_private_segment 0
		.amdhsa_system_sgpr_workgroup_id_x 1
		.amdhsa_system_sgpr_workgroup_id_y 0
		.amdhsa_system_sgpr_workgroup_id_z 0
		.amdhsa_system_sgpr_workgroup_info 0
		.amdhsa_system_vgpr_workitem_id 0
		.amdhsa_next_free_vgpr 47
		.amdhsa_next_free_sgpr 20
		.amdhsa_reserve_vcc 1
		.amdhsa_float_round_mode_32 0
		.amdhsa_float_round_mode_16_64 0
		.amdhsa_float_denorm_mode_32 3
		.amdhsa_float_denorm_mode_16_64 3
		.amdhsa_dx10_clamp 1
		.amdhsa_ieee_mode 1
		.amdhsa_fp16_overflow 0
		.amdhsa_workgroup_processor_mode 1
		.amdhsa_memory_ordered 1
		.amdhsa_forward_progress 0
		.amdhsa_shared_vgpr_count 0
		.amdhsa_exception_fp_ieee_invalid_op 0
		.amdhsa_exception_fp_denorm_src 0
		.amdhsa_exception_fp_ieee_div_zero 0
		.amdhsa_exception_fp_ieee_overflow 0
		.amdhsa_exception_fp_ieee_underflow 0
		.amdhsa_exception_fp_ieee_inexact 0
		.amdhsa_exception_int_div_zero 0
	.end_amdhsa_kernel
	.section	.text._ZN4vllm32rms_norm_static_fp8_quant_kernelIfN3c1015Float8_e4m3fnuzELi16EEEvPT0_PKT_iS7_PKffii,"axG",@progbits,_ZN4vllm32rms_norm_static_fp8_quant_kernelIfN3c1015Float8_e4m3fnuzELi16EEEvPT0_PKT_iS7_PKffii,comdat
.Lfunc_end5:
	.size	_ZN4vllm32rms_norm_static_fp8_quant_kernelIfN3c1015Float8_e4m3fnuzELi16EEEvPT0_PKT_iS7_PKffii, .Lfunc_end5-_ZN4vllm32rms_norm_static_fp8_quant_kernelIfN3c1015Float8_e4m3fnuzELi16EEEvPT0_PKT_iS7_PKffii
                                        ; -- End function
	.section	.AMDGPU.csdata,"",@progbits
; Kernel info:
; codeLenInByte = 10880
; NumSgprs: 22
; NumVgprs: 47
; ScratchSize: 0
; MemoryBound: 1
; FloatMode: 240
; IeeeMode: 1
; LDSByteSize: 132 bytes/workgroup (compile time only)
; SGPRBlocks: 2
; VGPRBlocks: 5
; NumSGPRsForWavesPerEU: 22
; NumVGPRsForWavesPerEU: 47
; Occupancy: 16
; WaveLimiterHint : 0
; COMPUTE_PGM_RSRC2:SCRATCH_EN: 0
; COMPUTE_PGM_RSRC2:USER_SGPR: 15
; COMPUTE_PGM_RSRC2:TRAP_HANDLER: 0
; COMPUTE_PGM_RSRC2:TGID_X_EN: 1
; COMPUTE_PGM_RSRC2:TGID_Y_EN: 0
; COMPUTE_PGM_RSRC2:TGID_Z_EN: 0
; COMPUTE_PGM_RSRC2:TIDIG_COMP_CNT: 0
	.section	.text._ZN4vllm32rms_norm_static_fp8_quant_kernelIfN3c1015Float8_e4m3fnuzELi8EEEvPT0_PKT_iS7_PKffii,"axG",@progbits,_ZN4vllm32rms_norm_static_fp8_quant_kernelIfN3c1015Float8_e4m3fnuzELi8EEEvPT0_PKT_iS7_PKffii,comdat
	.protected	_ZN4vllm32rms_norm_static_fp8_quant_kernelIfN3c1015Float8_e4m3fnuzELi8EEEvPT0_PKT_iS7_PKffii ; -- Begin function _ZN4vllm32rms_norm_static_fp8_quant_kernelIfN3c1015Float8_e4m3fnuzELi8EEEvPT0_PKT_iS7_PKffii
	.globl	_ZN4vllm32rms_norm_static_fp8_quant_kernelIfN3c1015Float8_e4m3fnuzELi8EEEvPT0_PKT_iS7_PKffii
	.p2align	8
	.type	_ZN4vllm32rms_norm_static_fp8_quant_kernelIfN3c1015Float8_e4m3fnuzELi8EEEvPT0_PKT_iS7_PKffii,@function
_ZN4vllm32rms_norm_static_fp8_quant_kernelIfN3c1015Float8_e4m3fnuzELi8EEEvPT0_PKT_iS7_PKffii: ; @_ZN4vllm32rms_norm_static_fp8_quant_kernelIfN3c1015Float8_e4m3fnuzELi8EEEvPT0_PKT_iS7_PKffii
; %bb.0:
	s_clause 0x3
	s_load_b32 s2, s[0:1], 0x10
	s_load_b64 s[4:5], s[0:1], 0x8
	s_load_b32 s8, s[0:1], 0x44
	s_load_b32 s13, s[0:1], 0x30
	s_mov_b32 s3, 0
	s_waitcnt lgkmcnt(0)
	s_mul_i32 s2, s15, s2
	s_delay_alu instid0(SALU_CYCLE_1) | instskip(NEXT) | instid1(SALU_CYCLE_1)
	s_lshl_b64 s[6:7], s[2:3], 2
	s_add_u32 s10, s4, s6
	s_addc_u32 s11, s5, s7
	s_and_b32 s2, s10, 31
	s_and_b32 s12, s8, 0xffff
	s_cmp_lg_u64 s[2:3], 0
	s_cselect_b32 s2, -1, 0
	s_and_b32 s3, s13, 7
	s_delay_alu instid0(SALU_CYCLE_1) | instskip(SKIP_1) | instid1(SALU_CYCLE_1)
	s_cmp_lg_u32 s3, 0
	s_cselect_b32 s3, -1, 0
	s_or_b32 s2, s2, s3
	s_delay_alu instid0(SALU_CYCLE_1)
	s_and_b32 vcc_lo, exec_lo, s2
	s_cbranch_vccz .LBB6_14
; %bb.1:
	s_sub_i32 s2, 0, s10
	v_mov_b32_e32 v4, 0
	s_bfe_u32 s2, s2, 0x30002
	s_mov_b32 s3, exec_lo
	s_min_i32 s8, s2, s13
	s_delay_alu instid0(SALU_CYCLE_1)
	v_cmpx_gt_i32_e64 s8, v0
	s_cbranch_execz .LBB6_5
; %bb.2:
	v_dual_mov_b32 v4, 0 :: v_dual_lshlrev_b32 v1, 2, v0
	s_add_u32 s2, s4, s6
	s_addc_u32 s9, s5, s7
	v_mov_b32_e32 v3, v0
	s_delay_alu instid0(VALU_DEP_2) | instskip(NEXT) | instid1(VALU_DEP_1)
	v_add_co_u32 v1, s2, s2, v1
	v_add_co_ci_u32_e64 v2, null, s9, 0, s2
	s_mov_b32 s9, 0
	s_lshl_b32 s14, s12, 2
.LBB6_3:                                ; =>This Inner Loop Header: Depth=1
	global_load_b32 v5, v[1:2], off
	v_add_nc_u32_e32 v3, s12, v3
	v_add_co_u32 v1, vcc_lo, v1, s14
	v_add_co_ci_u32_e32 v2, vcc_lo, 0, v2, vcc_lo
	s_waitcnt vmcnt(0)
	v_fmac_f32_e32 v4, v5, v5
	v_cmp_le_i32_e64 s2, s8, v3
	s_delay_alu instid0(VALU_DEP_1) | instskip(NEXT) | instid1(SALU_CYCLE_1)
	s_or_b32 s9, s2, s9
	s_and_not1_b32 exec_lo, exec_lo, s9
	s_cbranch_execnz .LBB6_3
; %bb.4:
	s_or_b32 exec_lo, exec_lo, s9
.LBB6_5:
	s_delay_alu instid0(SALU_CYCLE_1)
	s_or_b32 exec_lo, exec_lo, s3
	s_sub_i32 s3, s13, s8
	s_ashr_i32 s9, s8, 31
	s_ashr_i32 s2, s3, 31
	s_mov_b32 s16, exec_lo
	s_lshr_b32 s2, s2, 29
	s_delay_alu instid0(SALU_CYCLE_1) | instskip(NEXT) | instid1(SALU_CYCLE_1)
	s_add_i32 s2, s3, s2
	s_ashr_i32 s14, s2, 3
	s_delay_alu instid0(SALU_CYCLE_1)
	v_cmpx_gt_i32_e64 s14, v0
	s_cbranch_execz .LBB6_9
; %bb.6:
	v_lshlrev_b32_e32 v1, 5, v0
	s_lshl_b64 s[18:19], s[8:9], 2
	s_add_u32 s2, s4, s6
	s_addc_u32 s17, s5, s7
	s_add_u32 s2, s2, s18
	s_addc_u32 s17, s17, s19
	v_add_co_u32 v1, s2, s2, v1
	s_delay_alu instid0(VALU_DEP_1)
	v_add_co_ci_u32_e64 v2, null, s17, 0, s2
	v_mov_b32_e32 v3, v0
	s_mov_b32 s17, 0
	s_lshl_b32 s18, s12, 5
	.p2align	6
.LBB6_7:                                ; =>This Inner Loop Header: Depth=1
	s_clause 0x1
	global_load_b128 v[5:8], v[1:2], off
	global_load_b128 v[9:12], v[1:2], off offset:16
	v_add_co_u32 v1, vcc_lo, v1, s18
	v_add_co_ci_u32_e32 v2, vcc_lo, 0, v2, vcc_lo
	v_add_nc_u32_e32 v3, s12, v3
	s_delay_alu instid0(VALU_DEP_1) | instskip(NEXT) | instid1(VALU_DEP_1)
	v_cmp_le_i32_e64 s2, s14, v3
	s_or_b32 s17, s2, s17
	s_waitcnt vmcnt(1)
	v_fmac_f32_e32 v4, v5, v5
	s_delay_alu instid0(VALU_DEP_1) | instskip(NEXT) | instid1(VALU_DEP_1)
	v_fmac_f32_e32 v4, v6, v6
	v_fmac_f32_e32 v4, v7, v7
	s_delay_alu instid0(VALU_DEP_1) | instskip(SKIP_1) | instid1(VALU_DEP_1)
	v_fmac_f32_e32 v4, v8, v8
	s_waitcnt vmcnt(0)
	v_fmac_f32_e32 v4, v9, v9
	s_delay_alu instid0(VALU_DEP_1) | instskip(NEXT) | instid1(VALU_DEP_1)
	v_fmac_f32_e32 v4, v10, v10
	v_fmac_f32_e32 v4, v11, v11
	s_delay_alu instid0(VALU_DEP_1)
	v_fmac_f32_e32 v4, v12, v12
	s_and_not1_b32 exec_lo, exec_lo, s17
	s_cbranch_execnz .LBB6_7
; %bb.8:
	s_or_b32 exec_lo, exec_lo, s17
.LBB6_9:
	s_delay_alu instid0(SALU_CYCLE_1) | instskip(SKIP_2) | instid1(VALU_DEP_1)
	s_or_b32 exec_lo, exec_lo, s16
	v_lshl_add_u32 v1, s14, 3, v0
	s_mov_b32 s14, exec_lo
	v_cmpx_gt_i32_e64 s3, v1
	s_cbranch_execz .LBB6_13
; %bb.10:
	v_ashrrev_i32_e32 v2, 31, v1
	s_lshl_b64 s[8:9], s[8:9], 2
	s_add_u32 s2, s4, s6
	s_addc_u32 s16, s5, s7
	s_add_u32 s2, s2, s8
	v_lshlrev_b64 v[2:3], 2, v[1:2]
	s_addc_u32 s8, s16, s9
	s_lshl_b32 s9, s12, 2
	s_delay_alu instid0(VALU_DEP_1) | instskip(NEXT) | instid1(VALU_DEP_2)
	v_add_co_u32 v2, vcc_lo, s2, v2
	v_add_co_ci_u32_e32 v3, vcc_lo, s8, v3, vcc_lo
	s_mov_b32 s8, 0
.LBB6_11:                               ; =>This Inner Loop Header: Depth=1
	global_load_b32 v5, v[2:3], off
	v_add_nc_u32_e32 v1, s12, v1
	v_add_co_u32 v2, vcc_lo, v2, s9
	v_add_co_ci_u32_e32 v3, vcc_lo, 0, v3, vcc_lo
	s_delay_alu instid0(VALU_DEP_3) | instskip(NEXT) | instid1(VALU_DEP_1)
	v_cmp_le_i32_e64 s2, s3, v1
	s_or_b32 s8, s2, s8
	s_waitcnt vmcnt(0)
	v_fmac_f32_e32 v4, v5, v5
	s_and_not1_b32 exec_lo, exec_lo, s8
	s_cbranch_execnz .LBB6_11
; %bb.12:
	s_or_b32 exec_lo, exec_lo, s8
.LBB6_13:
	s_delay_alu instid0(SALU_CYCLE_1)
	s_or_b32 exec_lo, exec_lo, s14
	s_branch .LBB6_20
.LBB6_14:
                                        ; implicit-def: $vgpr4
	s_cbranch_execz .LBB6_20
; %bb.15:
	v_mov_b32_e32 v4, 0
	s_ashr_i32 s8, s13, 3
	s_mov_b32 s3, exec_lo
	v_cmpx_gt_i32_e64 s8, v0
	s_cbranch_execz .LBB6_19
; %bb.16:
	v_dual_mov_b32 v4, 0 :: v_dual_lshlrev_b32 v1, 5, v0
	s_add_u32 s2, s4, s6
	s_addc_u32 s4, s5, s7
	v_mov_b32_e32 v3, v0
	s_delay_alu instid0(VALU_DEP_2) | instskip(NEXT) | instid1(VALU_DEP_1)
	v_add_co_u32 v1, s2, s2, v1
	v_add_co_ci_u32_e64 v2, null, s4, 0, s2
	s_mov_b32 s4, 0
	s_lshl_b32 s5, s12, 5
	.p2align	6
.LBB6_17:                               ; =>This Inner Loop Header: Depth=1
	s_clause 0x1
	global_load_b128 v[5:8], v[1:2], off
	global_load_b128 v[9:12], v[1:2], off offset:16
	v_add_co_u32 v1, vcc_lo, v1, s5
	v_add_co_ci_u32_e32 v2, vcc_lo, 0, v2, vcc_lo
	v_add_nc_u32_e32 v3, s12, v3
	s_delay_alu instid0(VALU_DEP_1) | instskip(NEXT) | instid1(VALU_DEP_1)
	v_cmp_le_i32_e64 s2, s8, v3
	s_or_b32 s4, s2, s4
	s_waitcnt vmcnt(1)
	v_fmac_f32_e32 v4, v5, v5
	s_delay_alu instid0(VALU_DEP_1) | instskip(NEXT) | instid1(VALU_DEP_1)
	v_fmac_f32_e32 v4, v6, v6
	v_fmac_f32_e32 v4, v7, v7
	s_delay_alu instid0(VALU_DEP_1) | instskip(SKIP_1) | instid1(VALU_DEP_1)
	v_fmac_f32_e32 v4, v8, v8
	s_waitcnt vmcnt(0)
	v_fmac_f32_e32 v4, v9, v9
	s_delay_alu instid0(VALU_DEP_1) | instskip(NEXT) | instid1(VALU_DEP_1)
	v_fmac_f32_e32 v4, v10, v10
	v_fmac_f32_e32 v4, v11, v11
	s_delay_alu instid0(VALU_DEP_1)
	v_fmac_f32_e32 v4, v12, v12
	s_and_not1_b32 exec_lo, exec_lo, s4
	s_cbranch_execnz .LBB6_17
; %bb.18:
	s_or_b32 exec_lo, exec_lo, s4
.LBB6_19:
	s_delay_alu instid0(SALU_CYCLE_1)
	s_or_b32 exec_lo, exec_lo, s3
.LBB6_20:
	v_mbcnt_lo_u32_b32 v1, -1, 0
	v_and_b32_e32 v3, 0x3e0, v0
	s_mov_b32 s2, exec_lo
	s_delay_alu instid0(VALU_DEP_2) | instskip(NEXT) | instid1(VALU_DEP_2)
	v_cmp_ne_u32_e32 vcc_lo, 31, v1
	v_sub_nc_u32_e64 v12, s12, v3 clamp
	v_add_nc_u32_e32 v3, 1, v1
	v_add_co_ci_u32_e32 v2, vcc_lo, 0, v1, vcc_lo
	v_cmp_gt_u32_e32 vcc_lo, 30, v1
	s_delay_alu instid0(VALU_DEP_2)
	v_lshlrev_b32_e32 v2, 2, v2
	v_cndmask_b32_e64 v6, 0, 1, vcc_lo
	v_cmp_lt_u32_e32 vcc_lo, v3, v12
	ds_bpermute_b32 v5, v2, v4
	s_waitcnt lgkmcnt(0)
	v_dual_add_f32 v7, v4, v5 :: v_dual_lshlrev_b32 v6, 1, v6
	s_delay_alu instid0(VALU_DEP_1) | instskip(NEXT) | instid1(VALU_DEP_2)
	v_cndmask_b32_e32 v7, v4, v7, vcc_lo
	v_add_lshl_u32 v5, v6, v1, 2
	v_cmp_gt_u32_e32 vcc_lo, 28, v1
	ds_bpermute_b32 v6, v5, v7
	v_cndmask_b32_e64 v4, 0, 1, vcc_lo
	s_delay_alu instid0(VALU_DEP_1) | instskip(SKIP_1) | instid1(VALU_DEP_1)
	v_lshlrev_b32_e32 v8, 2, v4
	v_add_nc_u32_e32 v4, 2, v1
	v_cmp_lt_u32_e32 vcc_lo, v4, v12
	s_waitcnt lgkmcnt(0)
	v_add_f32_e32 v9, v7, v6
	v_add_lshl_u32 v6, v8, v1, 2
	s_delay_alu instid0(VALU_DEP_2) | instskip(SKIP_2) | instid1(VALU_DEP_1)
	v_cndmask_b32_e32 v9, v7, v9, vcc_lo
	v_cmp_gt_u32_e32 vcc_lo, 24, v1
	v_cndmask_b32_e64 v7, 0, 1, vcc_lo
	v_lshlrev_b32_e32 v10, 3, v7
	ds_bpermute_b32 v8, v6, v9
	v_add_nc_u32_e32 v7, 4, v1
	s_delay_alu instid0(VALU_DEP_1) | instskip(SKIP_3) | instid1(VALU_DEP_2)
	v_cmp_lt_u32_e32 vcc_lo, v7, v12
	s_waitcnt lgkmcnt(0)
	v_add_f32_e32 v11, v9, v8
	v_add_lshl_u32 v8, v10, v1, 2
	v_cndmask_b32_e32 v11, v9, v11, vcc_lo
	v_cmp_gt_u32_e32 vcc_lo, 16, v1
	ds_bpermute_b32 v10, v8, v11
	v_cndmask_b32_e64 v9, 0, 1, vcc_lo
	s_delay_alu instid0(VALU_DEP_1) | instskip(SKIP_1) | instid1(VALU_DEP_1)
	v_lshlrev_b32_e32 v13, 4, v9
	v_add_nc_u32_e32 v9, 8, v1
	v_cmp_lt_u32_e32 vcc_lo, v9, v12
	s_waitcnt lgkmcnt(0)
	v_add_f32_e32 v14, v11, v10
	v_add_lshl_u32 v10, v13, v1, 2
	s_delay_alu instid0(VALU_DEP_2)
	v_cndmask_b32_e32 v13, v11, v14, vcc_lo
	v_add_nc_u32_e32 v11, 16, v1
	ds_bpermute_b32 v14, v10, v13
	v_cmp_lt_u32_e32 vcc_lo, v11, v12
	s_waitcnt lgkmcnt(0)
	v_add_f32_e32 v14, v13, v14
	s_delay_alu instid0(VALU_DEP_1)
	v_cndmask_b32_e32 v12, v13, v14, vcc_lo
	v_cmpx_eq_u32_e32 0, v1
	s_cbranch_execz .LBB6_22
; %bb.21:
	v_lshrrev_b32_e32 v13, 3, v0
	s_delay_alu instid0(VALU_DEP_1)
	v_and_b32_e32 v13, 0x7c, v13
	ds_store_b32 v13, v12
.LBB6_22:
	s_or_b32 exec_lo, exec_lo, s2
	s_delay_alu instid0(SALU_CYCLE_1)
	s_mov_b32 s2, exec_lo
	s_waitcnt lgkmcnt(0)
	s_barrier
	buffer_gl0_inv
	v_cmpx_gt_u32_e32 32, v0
	s_cbranch_execz .LBB6_24
; %bb.23:
	v_lshlrev_b32_e32 v1, 2, v1
	s_add_i32 s3, s12, 31
	s_delay_alu instid0(SALU_CYCLE_1) | instskip(NEXT) | instid1(SALU_CYCLE_1)
	s_lshr_b32 s3, s3, 5
	v_cmp_gt_u32_e32 vcc_lo, s3, v3
	ds_load_b32 v1, v1
	s_waitcnt lgkmcnt(0)
	ds_bpermute_b32 v2, v2, v1
	s_waitcnt lgkmcnt(0)
	v_add_f32_e32 v2, v1, v2
	s_delay_alu instid0(VALU_DEP_1) | instskip(SKIP_4) | instid1(VALU_DEP_1)
	v_cndmask_b32_e32 v1, v1, v2, vcc_lo
	v_cmp_gt_u32_e32 vcc_lo, s3, v4
	ds_bpermute_b32 v2, v5, v1
	s_waitcnt lgkmcnt(0)
	v_add_f32_e32 v2, v1, v2
	v_cndmask_b32_e32 v1, v1, v2, vcc_lo
	v_cmp_gt_u32_e32 vcc_lo, s3, v7
	ds_bpermute_b32 v2, v6, v1
	s_waitcnt lgkmcnt(0)
	v_add_f32_e32 v2, v1, v2
	s_delay_alu instid0(VALU_DEP_1) | instskip(SKIP_4) | instid1(VALU_DEP_1)
	v_cndmask_b32_e32 v1, v1, v2, vcc_lo
	v_cmp_gt_u32_e32 vcc_lo, s3, v9
	ds_bpermute_b32 v2, v8, v1
	s_waitcnt lgkmcnt(0)
	v_add_f32_e32 v2, v1, v2
	v_cndmask_b32_e32 v1, v1, v2, vcc_lo
	v_cmp_gt_u32_e32 vcc_lo, s3, v11
	ds_bpermute_b32 v2, v10, v1
	s_waitcnt lgkmcnt(0)
	v_add_f32_e32 v2, v1, v2
	s_delay_alu instid0(VALU_DEP_1)
	v_cndmask_b32_e32 v12, v1, v2, vcc_lo
.LBB6_24:
	s_or_b32 exec_lo, exec_lo, s2
	s_delay_alu instid0(SALU_CYCLE_1)
	s_mov_b32 s2, exec_lo
	v_cmpx_eq_u32_e32 0, v0
	s_cbranch_execz .LBB6_26
; %bb.25:
	v_cvt_f32_i32_e32 v1, s13
	s_load_b32 s3, s[0:1], 0x28
	s_delay_alu instid0(VALU_DEP_1) | instskip(SKIP_1) | instid1(VALU_DEP_2)
	v_div_scale_f32 v2, null, v1, v1, v12
	v_div_scale_f32 v5, vcc_lo, v12, v1, v12
	v_rcp_f32_e32 v3, v2
	s_waitcnt_depctr 0xfff
	v_fma_f32 v4, -v2, v3, 1.0
	s_delay_alu instid0(VALU_DEP_1) | instskip(NEXT) | instid1(VALU_DEP_1)
	v_fmac_f32_e32 v3, v4, v3
	v_mul_f32_e32 v4, v5, v3
	s_delay_alu instid0(VALU_DEP_1) | instskip(NEXT) | instid1(VALU_DEP_1)
	v_fma_f32 v6, -v2, v4, v5
	v_fmac_f32_e32 v4, v6, v3
	s_delay_alu instid0(VALU_DEP_1) | instskip(NEXT) | instid1(VALU_DEP_1)
	v_fma_f32 v2, -v2, v4, v5
	v_div_fmas_f32 v2, v2, v3, v4
	s_delay_alu instid0(VALU_DEP_1) | instskip(SKIP_1) | instid1(VALU_DEP_1)
	v_div_fixup_f32 v1, v2, v1, v12
	s_waitcnt lgkmcnt(0)
	v_add_f32_e32 v1, s3, v1
	s_delay_alu instid0(VALU_DEP_1) | instskip(SKIP_1) | instid1(VALU_DEP_2)
	v_mul_f32_e32 v2, 0x4b800000, v1
	v_cmp_gt_f32_e32 vcc_lo, 0x800000, v1
	v_cndmask_b32_e32 v1, v1, v2, vcc_lo
	s_delay_alu instid0(VALU_DEP_1) | instskip(SKIP_2) | instid1(VALU_DEP_1)
	v_rsq_f32_e32 v1, v1
	s_waitcnt_depctr 0xfff
	v_mul_f32_e32 v2, 0x45800000, v1
	v_dual_cndmask_b32 v1, v1, v2 :: v_dual_mov_b32 v2, 0
	ds_store_b32 v2, v1 offset:128
.LBB6_26:
	s_or_b32 exec_lo, exec_lo, s2
	s_ashr_i32 s2, s13, 31
	s_waitcnt lgkmcnt(0)
	s_lshr_b32 s2, s2, 29
	s_barrier
	s_add_i32 s2, s13, s2
	buffer_gl0_inv
	s_ashr_i32 s8, s2, 3
	s_mov_b32 s2, exec_lo
	v_cmpx_gt_i32_e64 s8, v0
	s_cbranch_execz .LBB6_109
; %bb.27:
	s_clause 0x1
	s_load_b128 s[4:7], s[0:1], 0x18
	s_load_b64 s[2:3], s[0:1], 0x0
	s_mul_i32 s15, s15, s13
	s_lshl_b32 s9, s12, 5
	v_lshl_add_u32 v22, v0, 3, s15
	s_mov_b32 s13, 0x43600000
	v_mov_b32_e32 v18, 0
	v_lshlrev_b32_e32 v24, 5, v0
	ds_load_b32 v21, v18 offset:128
	s_waitcnt lgkmcnt(0)
	s_load_b32 s7, s[6:7], 0x0
	s_lshl_b32 s6, s12, 3
	s_waitcnt lgkmcnt(0)
	v_div_scale_f32 v1, null, s7, s7, 1.0
	v_div_scale_f32 v4, vcc_lo, 1.0, s7, 1.0
	s_delay_alu instid0(VALU_DEP_2) | instskip(SKIP_2) | instid1(VALU_DEP_1)
	v_rcp_f32_e32 v2, v1
	s_waitcnt_depctr 0xfff
	v_fma_f32 v3, -v1, v2, 1.0
	v_fmac_f32_e32 v2, v3, v2
	s_delay_alu instid0(VALU_DEP_1) | instskip(NEXT) | instid1(VALU_DEP_1)
	v_mul_f32_e32 v3, v4, v2
	v_fma_f32 v5, -v1, v3, v4
	s_delay_alu instid0(VALU_DEP_1) | instskip(NEXT) | instid1(VALU_DEP_1)
	v_fmac_f32_e32 v3, v5, v2
	v_fma_f32 v1, -v1, v3, v4
	s_delay_alu instid0(VALU_DEP_1) | instskip(NEXT) | instid1(VALU_DEP_1)
	v_div_fmas_f32 v1, v1, v2, v3
	v_div_fixup_f32 v23, v1, s7, 1.0
	s_mov_b32 s7, 0
	s_branch .LBB6_32
.LBB6_28:                               ;   in Loop: Header=BB6_32 Depth=1
	s_or_b32 exec_lo, exec_lo, s0
	s_delay_alu instid0(VALU_DEP_2) | instskip(NEXT) | instid1(VALU_DEP_2)
	v_lshrrev_b64 v[1:2], 20, v[1:2]
	v_cmp_gt_i32_e32 vcc_lo, 16, v4
	v_and_b32_e32 v3, 0x80, v3
	v_min_i32_e32 v5, 15, v4
	v_cmp_eq_u32_e64 s0, 0, v4
	v_dual_cndmask_b32 v2, 0, v2 :: v_dual_cndmask_b32 v1, 7, v1
	s_delay_alu instid0(VALU_DEP_3) | instskip(NEXT) | instid1(VALU_DEP_2)
	v_lshl_or_b32 v3, v5, 3, v3
	v_cmp_eq_u64_e32 vcc_lo, 0, v[1:2]
	s_delay_alu instid0(VALU_DEP_2)
	v_and_or_b32 v1, v1, 7, v3
	s_and_b32 s0, s0, vcc_lo
	s_delay_alu instid0(VALU_DEP_1) | instid1(SALU_CYCLE_1)
	v_cndmask_b32_e64 v1, v1, 0, s0
.LBB6_29:                               ;   in Loop: Header=BB6_32 Depth=1
	s_or_b32 exec_lo, exec_lo, s16
.LBB6_30:                               ;   in Loop: Header=BB6_32 Depth=1
	s_and_not1_saveexec_b32 s0, s15
	s_delay_alu instid0(SALU_CYCLE_1)
	s_or_b32 exec_lo, exec_lo, s0
.LBB6_31:                               ;   in Loop: Header=BB6_32 Depth=1
	s_and_not1_saveexec_b32 s0, s14
	s_delay_alu instid0(SALU_CYCLE_1)
	s_or_b32 exec_lo, exec_lo, s0
	v_add_nc_u32_e32 v0, s12, v0
	s_add_u32 s4, s4, s9
	v_add_nc_u32_e32 v2, 7, v22
	v_add_nc_u32_e32 v22, s6, v22
	s_addc_u32 s5, s5, 0
	v_cmp_le_i32_e32 vcc_lo, s8, v0
	s_add_u32 s10, s10, s9
	s_addc_u32 s11, s11, 0
	global_store_b8 v2, v1, s[2:3]
	s_or_b32 s7, vcc_lo, s7
	s_delay_alu instid0(SALU_CYCLE_1)
	s_and_not1_b32 exec_lo, exec_lo, s7
	s_cbranch_execz .LBB6_109
.LBB6_32:                               ; =>This Inner Loop Header: Depth=1
	v_add_co_u32 v1, s0, s10, v24
	s_delay_alu instid0(VALU_DEP_1) | instskip(SKIP_1) | instid1(VALU_DEP_1)
	v_add_co_ci_u32_e64 v2, null, s11, 0, s0
	v_add_co_u32 v5, s0, s4, v24
	v_add_co_ci_u32_e64 v6, null, s5, 0, s0
	global_load_b128 v[9:12], v[1:2], off
	global_load_b128 v[13:16], v[5:6], off
	global_load_b128 v[1:4], v[1:2], off offset:16
	global_load_b128 v[5:8], v[5:6], off offset:16
	s_mov_b32 s0, exec_lo
	s_waitcnt vmcnt(3)
	v_mul_f32_e32 v9, v9, v21
	s_waitcnt vmcnt(2)
	s_delay_alu instid0(VALU_DEP_1) | instskip(NEXT) | instid1(VALU_DEP_1)
	v_mul_f32_e32 v9, v9, v13
	v_mul_f32_e32 v9, v23, v9
	s_delay_alu instid0(VALU_DEP_1) | instskip(NEXT) | instid1(VALU_DEP_1)
	v_minmax_f32 v13, v9, s13, 0xc3600000
	v_lshrrev_b32_e32 v9, 24, v13
	v_and_b32_e32 v17, 0x7f800000, v13
	s_delay_alu instid0(VALU_DEP_2) | instskip(NEXT) | instid1(VALU_DEP_2)
	v_or_b32_e32 v19, 0x7f, v9
	v_cmpx_ne_u64_e32 0x7f800000, v[17:18]
	s_xor_b32 s14, exec_lo, s0
	s_cbranch_execz .LBB6_42
; %bb.33:                               ;   in Loop: Header=BB6_32 Depth=1
	v_and_b32_e32 v17, 0x7fffffff, v13
	s_mov_b32 s0, exec_lo
	s_delay_alu instid0(VALU_DEP_1)
	v_cmpx_gt_u64_e32 0x43700001, v[17:18]
	s_xor_b32 s15, exec_lo, s0
	s_cbranch_execz .LBB6_41
; %bb.34:                               ;   in Loop: Header=BB6_32 Depth=1
	v_mov_b32_e32 v19, 0
	s_mov_b32 s16, exec_lo
	v_cmpx_ne_u32_e32 0, v13
	s_cbranch_execz .LBB6_40
; %bb.35:                               ;   in Loop: Header=BB6_32 Depth=1
	v_bfe_u32 v29, v13, 23, 8
	v_and_b32_e32 v13, 0x7fffff, v13
	s_delay_alu instid0(VALU_DEP_2) | instskip(SKIP_1) | instid1(VALU_DEP_2)
	v_sub_nc_u32_e64 v17, 0x78, v29 clamp
	v_cmp_eq_u32_e32 vcc_lo, 0, v29
	v_cndmask_b32_e64 v30, v17, 0x77, vcc_lo
	s_delay_alu instid0(VALU_DEP_1) | instskip(NEXT) | instid1(VALU_DEP_1)
	v_add_nc_u32_e32 v19, 20, v30
	v_lshlrev_b64 v[19:20], v19, -1
	v_mov_b32_e32 v20, v18
	v_or_b32_e32 v17, 0x800000, v13
	s_delay_alu instid0(VALU_DEP_3) | instskip(NEXT) | instid1(VALU_DEP_2)
	v_not_b32_e32 v19, v19
	v_cndmask_b32_e32 v17, v17, v13, vcc_lo
	v_add_nc_u32_e32 v13, 19, v30
	s_delay_alu instid0(VALU_DEP_2) | instskip(NEXT) | instid1(VALU_DEP_2)
	v_lshrrev_b64 v[27:28], v30, v[17:18]
	v_lshlrev_b64 v[25:26], v13, 1
	v_and_b32_e32 v19, v17, v19
	v_add_nc_u32_e32 v13, 0xffffff89, v29
	s_delay_alu instid0(VALU_DEP_4) | instskip(NEXT) | instid1(VALU_DEP_3)
	v_and_b32_e32 v17, 0x100000, v27
	v_cmp_eq_u64_e64 s0, v[19:20], v[25:26]
	s_delay_alu instid0(VALU_DEP_3) | instskip(NEXT) | instid1(VALU_DEP_3)
	v_cndmask_b32_e64 v13, v13, 0xffffff8a, vcc_lo
	v_cmp_eq_u64_e64 s1, 0, v[17:18]
	v_lshrrev_b32_e32 v17, 23, v27
	s_delay_alu instid0(VALU_DEP_1) | instskip(NEXT) | instid1(VALU_DEP_3)
	v_add3_u32 v25, v13, v30, v17
	s_and_b32 vcc_lo, s1, s0
	s_mov_b32 s0, exec_lo
	v_subrev_co_ci_u32_e32 v19, vcc_lo, 0, v27, vcc_lo
	s_delay_alu instid0(VALU_DEP_2) | instskip(NEXT) | instid1(VALU_DEP_2)
	v_add_nc_u32_e32 v26, -1, v25
	v_and_b32_e32 v13, 0xfffff, v19
	s_delay_alu instid0(VALU_DEP_1) | instskip(SKIP_1) | instid1(VALU_DEP_4)
	v_add_co_u32 v19, vcc_lo, v13, v27
	v_add_co_ci_u32_e32 v20, vcc_lo, 0, v28, vcc_lo
                                        ; implicit-def: $vgpr13
	v_cmpx_ne_u32_e32 0, v26
	s_xor_b32 s0, exec_lo, s0
; %bb.36:                               ;   in Loop: Header=BB6_32 Depth=1
	s_delay_alu instid0(VALU_DEP_3) | instskip(SKIP_1) | instid1(VALU_DEP_2)
	v_and_b32_e32 v17, 0x1000000, v19
	v_bfe_u32 v13, v19, 24, 1
	v_cmp_eq_u64_e32 vcc_lo, 0, v[17:18]
	s_delay_alu instid0(VALU_DEP_2)
	v_lshrrev_b64 v[19:20], v13, v[19:20]
	v_cndmask_b32_e32 v13, v25, v26, vcc_lo
; %bb.37:                               ;   in Loop: Header=BB6_32 Depth=1
	s_and_not1_saveexec_b32 s0, s0
; %bb.38:                               ;   in Loop: Header=BB6_32 Depth=1
	s_delay_alu instid0(VALU_DEP_2)
	v_bfe_u32 v13, v19, 23, 1
; %bb.39:                               ;   in Loop: Header=BB6_32 Depth=1
	s_or_b32 exec_lo, exec_lo, s0
	s_delay_alu instid0(VALU_DEP_3) | instskip(NEXT) | instid1(VALU_DEP_2)
	v_lshrrev_b64 v[19:20], 20, v[19:20]
	v_cmp_gt_i32_e32 vcc_lo, 16, v13
	v_and_b32_e32 v9, 0x80, v9
	v_min_i32_e32 v17, 15, v13
	v_cmp_eq_u32_e64 s0, 0, v13
	v_dual_cndmask_b32 v20, 0, v20 :: v_dual_cndmask_b32 v19, 7, v19
	s_delay_alu instid0(VALU_DEP_3) | instskip(NEXT) | instid1(VALU_DEP_2)
	v_lshl_or_b32 v9, v17, 3, v9
	v_cmp_eq_u64_e32 vcc_lo, 0, v[19:20]
	s_delay_alu instid0(VALU_DEP_2)
	v_and_or_b32 v9, v19, 7, v9
	s_and_b32 s0, s0, vcc_lo
	s_delay_alu instid0(VALU_DEP_1) | instid1(SALU_CYCLE_1)
	v_cndmask_b32_e64 v19, v9, 0, s0
.LBB6_40:                               ;   in Loop: Header=BB6_32 Depth=1
	s_or_b32 exec_lo, exec_lo, s16
.LBB6_41:                               ;   in Loop: Header=BB6_32 Depth=1
	s_and_not1_saveexec_b32 s0, s15
	s_delay_alu instid0(SALU_CYCLE_1)
	s_or_b32 exec_lo, exec_lo, s0
.LBB6_42:                               ;   in Loop: Header=BB6_32 Depth=1
	s_and_not1_saveexec_b32 s0, s14
	s_delay_alu instid0(SALU_CYCLE_1) | instskip(SKIP_4) | instid1(VALU_DEP_1)
	s_or_b32 exec_lo, exec_lo, s0
	v_mul_f32_e32 v9, v10, v21
	global_store_b8 v22, v19, s[2:3]
	s_mov_b32 s0, exec_lo
	v_mul_f32_e32 v9, v9, v14
	v_mul_f32_e32 v9, v23, v9
	s_delay_alu instid0(VALU_DEP_1) | instskip(NEXT) | instid1(VALU_DEP_1)
	v_minmax_f32 v10, v9, s13, 0xc3600000
	v_lshrrev_b32_e32 v13, 24, v10
	v_and_b32_e32 v17, 0x7f800000, v10
	s_delay_alu instid0(VALU_DEP_2) | instskip(NEXT) | instid1(VALU_DEP_2)
	v_or_b32_e32 v9, 0x7f, v13
	v_cmpx_ne_u64_e32 0x7f800000, v[17:18]
	s_xor_b32 s14, exec_lo, s0
	s_cbranch_execz .LBB6_52
; %bb.43:                               ;   in Loop: Header=BB6_32 Depth=1
	v_and_b32_e32 v17, 0x7fffffff, v10
	s_mov_b32 s0, exec_lo
	s_delay_alu instid0(VALU_DEP_1)
	v_cmpx_gt_u64_e32 0x43700001, v[17:18]
	s_xor_b32 s15, exec_lo, s0
	s_cbranch_execz .LBB6_51
; %bb.44:                               ;   in Loop: Header=BB6_32 Depth=1
	v_mov_b32_e32 v9, 0
	s_mov_b32 s16, exec_lo
	v_cmpx_ne_u32_e32 0, v10
	s_cbranch_execz .LBB6_50
; %bb.45:                               ;   in Loop: Header=BB6_32 Depth=1
	v_bfe_u32 v14, v10, 23, 8
	v_and_b32_e32 v10, 0x7fffff, v10
	s_delay_alu instid0(VALU_DEP_2) | instskip(SKIP_2) | instid1(VALU_DEP_3)
	v_sub_nc_u32_e64 v9, 0x78, v14 clamp
	v_cmp_eq_u32_e32 vcc_lo, 0, v14
	v_add_nc_u32_e32 v14, 0xffffff89, v14
	v_cndmask_b32_e64 v27, v9, 0x77, vcc_lo
	v_or_b32_e32 v9, 0x800000, v10
	s_delay_alu instid0(VALU_DEP_2) | instskip(NEXT) | instid1(VALU_DEP_2)
	v_add_nc_u32_e32 v19, 20, v27
	v_cndmask_b32_e32 v17, v9, v10, vcc_lo
	s_delay_alu instid0(VALU_DEP_2) | instskip(SKIP_1) | instid1(VALU_DEP_3)
	v_lshlrev_b64 v[9:10], v19, -1
	v_add_nc_u32_e32 v19, 19, v27
	v_lshrrev_b64 v[25:26], v27, v[17:18]
	v_mov_b32_e32 v10, v18
	s_delay_alu instid0(VALU_DEP_3) | instskip(SKIP_1) | instid1(VALU_DEP_1)
	v_lshlrev_b64 v[19:20], v19, 1
	v_not_b32_e32 v9, v9
	v_and_b32_e32 v9, v17, v9
	v_and_b32_e32 v17, 0x100000, v25
	s_delay_alu instid0(VALU_DEP_2) | instskip(NEXT) | instid1(VALU_DEP_2)
	v_cmp_eq_u64_e64 s0, v[9:10], v[19:20]
	v_cmp_eq_u64_e64 s1, 0, v[17:18]
	v_cndmask_b32_e64 v9, v14, 0xffffff8a, vcc_lo
	v_lshrrev_b32_e32 v10, 23, v25
	s_delay_alu instid0(VALU_DEP_3) | instskip(NEXT) | instid1(VALU_DEP_1)
	s_and_b32 vcc_lo, s1, s0
	v_add3_u32 v19, v9, v27, v10
	v_subrev_co_ci_u32_e32 v14, vcc_lo, 0, v25, vcc_lo
	s_mov_b32 s0, exec_lo
	s_delay_alu instid0(VALU_DEP_2) | instskip(NEXT) | instid1(VALU_DEP_2)
	v_add_nc_u32_e32 v20, -1, v19
	v_and_b32_e32 v9, 0xfffff, v14
                                        ; implicit-def: $vgpr14
	s_delay_alu instid0(VALU_DEP_1) | instskip(SKIP_1) | instid1(VALU_DEP_4)
	v_add_co_u32 v9, vcc_lo, v9, v25
	v_add_co_ci_u32_e32 v10, vcc_lo, 0, v26, vcc_lo
	v_cmpx_ne_u32_e32 0, v20
	s_xor_b32 s0, exec_lo, s0
; %bb.46:                               ;   in Loop: Header=BB6_32 Depth=1
	s_delay_alu instid0(VALU_DEP_3) | instskip(SKIP_1) | instid1(VALU_DEP_2)
	v_and_b32_e32 v17, 0x1000000, v9
	v_bfe_u32 v14, v9, 24, 1
	v_cmp_eq_u64_e32 vcc_lo, 0, v[17:18]
	s_delay_alu instid0(VALU_DEP_2)
	v_lshrrev_b64 v[9:10], v14, v[9:10]
	v_cndmask_b32_e32 v14, v19, v20, vcc_lo
; %bb.47:                               ;   in Loop: Header=BB6_32 Depth=1
	s_and_not1_saveexec_b32 s0, s0
; %bb.48:                               ;   in Loop: Header=BB6_32 Depth=1
	s_delay_alu instid0(VALU_DEP_2)
	v_bfe_u32 v14, v9, 23, 1
; %bb.49:                               ;   in Loop: Header=BB6_32 Depth=1
	s_or_b32 exec_lo, exec_lo, s0
	s_delay_alu instid0(VALU_DEP_3) | instskip(NEXT) | instid1(VALU_DEP_2)
	v_lshrrev_b64 v[9:10], 20, v[9:10]
	v_cmp_gt_i32_e32 vcc_lo, 16, v14
	v_and_b32_e32 v13, 0x80, v13
	v_min_i32_e32 v17, 15, v14
	v_cmp_eq_u32_e64 s0, 0, v14
	v_dual_cndmask_b32 v10, 0, v10 :: v_dual_cndmask_b32 v9, 7, v9
	s_delay_alu instid0(VALU_DEP_3) | instskip(NEXT) | instid1(VALU_DEP_2)
	v_lshl_or_b32 v13, v17, 3, v13
	v_cmp_eq_u64_e32 vcc_lo, 0, v[9:10]
	s_delay_alu instid0(VALU_DEP_2)
	v_and_or_b32 v9, v9, 7, v13
	s_and_b32 s0, s0, vcc_lo
	s_delay_alu instid0(VALU_DEP_1) | instid1(SALU_CYCLE_1)
	v_cndmask_b32_e64 v9, v9, 0, s0
.LBB6_50:                               ;   in Loop: Header=BB6_32 Depth=1
	s_or_b32 exec_lo, exec_lo, s16
.LBB6_51:                               ;   in Loop: Header=BB6_32 Depth=1
	s_and_not1_saveexec_b32 s0, s15
	s_delay_alu instid0(SALU_CYCLE_1)
	s_or_b32 exec_lo, exec_lo, s0
.LBB6_52:                               ;   in Loop: Header=BB6_32 Depth=1
	s_and_not1_saveexec_b32 s0, s14
	s_delay_alu instid0(SALU_CYCLE_1) | instskip(SKIP_3) | instid1(VALU_DEP_2)
	s_or_b32 exec_lo, exec_lo, s0
	v_mul_f32_e32 v10, v11, v21
	v_add_nc_u32_e32 v14, 1, v22
	s_mov_b32 s0, exec_lo
	v_mul_f32_e32 v10, v10, v15
	global_store_b8 v14, v9, s[2:3]
	v_mul_f32_e32 v10, v23, v10
	s_delay_alu instid0(VALU_DEP_1) | instskip(NEXT) | instid1(VALU_DEP_1)
	v_minmax_f32 v13, v10, s13, 0xc3600000
	v_and_b32_e32 v17, 0x7f800000, v13
	v_lshrrev_b32_e32 v11, 24, v13
	s_delay_alu instid0(VALU_DEP_1) | instskip(NEXT) | instid1(VALU_DEP_3)
	v_or_b32_e32 v10, 0x7f, v11
	v_cmpx_ne_u64_e32 0x7f800000, v[17:18]
	s_xor_b32 s14, exec_lo, s0
	s_cbranch_execz .LBB6_62
; %bb.53:                               ;   in Loop: Header=BB6_32 Depth=1
	v_and_b32_e32 v17, 0x7fffffff, v13
	s_mov_b32 s0, exec_lo
	s_delay_alu instid0(VALU_DEP_1)
	v_cmpx_gt_u64_e32 0x43700001, v[17:18]
	s_xor_b32 s15, exec_lo, s0
	s_cbranch_execz .LBB6_61
; %bb.54:                               ;   in Loop: Header=BB6_32 Depth=1
	v_mov_b32_e32 v10, 0
	s_mov_b32 s16, exec_lo
	v_cmpx_ne_u32_e32 0, v13
	s_cbranch_execz .LBB6_60
; %bb.55:                               ;   in Loop: Header=BB6_32 Depth=1
	v_bfe_u32 v15, v13, 23, 8
	v_and_b32_e32 v10, 0x7fffff, v13
	s_delay_alu instid0(VALU_DEP_2) | instskip(SKIP_2) | instid1(VALU_DEP_3)
	v_sub_nc_u32_e64 v9, 0x78, v15 clamp
	v_cmp_eq_u32_e32 vcc_lo, 0, v15
	v_add_nc_u32_e32 v15, 0xffffff89, v15
	v_cndmask_b32_e64 v25, v9, 0x77, vcc_lo
	v_or_b32_e32 v9, 0x800000, v10
	s_delay_alu instid0(VALU_DEP_2) | instskip(NEXT) | instid1(VALU_DEP_2)
	v_add_nc_u32_e32 v13, 20, v25
	v_cndmask_b32_e32 v17, v9, v10, vcc_lo
	s_delay_alu instid0(VALU_DEP_2) | instskip(SKIP_1) | instid1(VALU_DEP_3)
	v_lshlrev_b64 v[9:10], v13, -1
	v_dual_mov_b32 v10, v18 :: v_dual_add_nc_u32 v13, 19, v25
	v_lshrrev_b64 v[19:20], v25, v[17:18]
	s_delay_alu instid0(VALU_DEP_3) | instskip(NEXT) | instid1(VALU_DEP_3)
	v_not_b32_e32 v9, v9
	v_lshlrev_b64 v[13:14], v13, 1
	s_delay_alu instid0(VALU_DEP_2) | instskip(NEXT) | instid1(VALU_DEP_4)
	v_and_b32_e32 v9, v17, v9
	v_and_b32_e32 v17, 0x100000, v19
	s_delay_alu instid0(VALU_DEP_2) | instskip(NEXT) | instid1(VALU_DEP_2)
	v_cmp_eq_u64_e64 s0, v[9:10], v[13:14]
	v_cmp_eq_u64_e64 s1, 0, v[17:18]
	v_cndmask_b32_e64 v9, v15, 0xffffff8a, vcc_lo
	v_lshrrev_b32_e32 v10, 23, v19
	s_delay_alu instid0(VALU_DEP_3) | instskip(NEXT) | instid1(VALU_DEP_1)
	s_and_b32 vcc_lo, s1, s0
	v_add3_u32 v14, v9, v25, v10
	v_subrev_co_ci_u32_e32 v13, vcc_lo, 0, v19, vcc_lo
	s_mov_b32 s0, exec_lo
	s_delay_alu instid0(VALU_DEP_2) | instskip(NEXT) | instid1(VALU_DEP_2)
	v_add_nc_u32_e32 v15, -1, v14
	v_and_b32_e32 v9, 0xfffff, v13
                                        ; implicit-def: $vgpr13
	s_delay_alu instid0(VALU_DEP_1) | instskip(SKIP_1) | instid1(VALU_DEP_4)
	v_add_co_u32 v9, vcc_lo, v9, v19
	v_add_co_ci_u32_e32 v10, vcc_lo, 0, v20, vcc_lo
	v_cmpx_ne_u32_e32 0, v15
	s_xor_b32 s0, exec_lo, s0
; %bb.56:                               ;   in Loop: Header=BB6_32 Depth=1
	s_delay_alu instid0(VALU_DEP_3) | instskip(SKIP_1) | instid1(VALU_DEP_2)
	v_and_b32_e32 v17, 0x1000000, v9
	v_bfe_u32 v13, v9, 24, 1
	v_cmp_eq_u64_e32 vcc_lo, 0, v[17:18]
	s_delay_alu instid0(VALU_DEP_2)
	v_lshrrev_b64 v[9:10], v13, v[9:10]
	v_cndmask_b32_e32 v13, v14, v15, vcc_lo
; %bb.57:                               ;   in Loop: Header=BB6_32 Depth=1
	s_and_not1_saveexec_b32 s0, s0
; %bb.58:                               ;   in Loop: Header=BB6_32 Depth=1
	s_delay_alu instid0(VALU_DEP_2)
	v_bfe_u32 v13, v9, 23, 1
; %bb.59:                               ;   in Loop: Header=BB6_32 Depth=1
	s_or_b32 exec_lo, exec_lo, s0
	s_delay_alu instid0(VALU_DEP_3) | instskip(NEXT) | instid1(VALU_DEP_2)
	v_lshrrev_b64 v[9:10], 20, v[9:10]
	v_cmp_gt_i32_e32 vcc_lo, 16, v13
	v_and_b32_e32 v11, 0x80, v11
	v_min_i32_e32 v14, 15, v13
	v_cmp_eq_u32_e64 s0, 0, v13
	v_dual_cndmask_b32 v10, 0, v10 :: v_dual_cndmask_b32 v9, 7, v9
	s_delay_alu instid0(VALU_DEP_3) | instskip(NEXT) | instid1(VALU_DEP_2)
	v_lshl_or_b32 v11, v14, 3, v11
	v_cmp_eq_u64_e32 vcc_lo, 0, v[9:10]
	s_delay_alu instid0(VALU_DEP_2)
	v_and_or_b32 v9, v9, 7, v11
	s_and_b32 s0, s0, vcc_lo
	s_delay_alu instid0(VALU_DEP_1) | instid1(SALU_CYCLE_1)
	v_cndmask_b32_e64 v10, v9, 0, s0
.LBB6_60:                               ;   in Loop: Header=BB6_32 Depth=1
	s_or_b32 exec_lo, exec_lo, s16
.LBB6_61:                               ;   in Loop: Header=BB6_32 Depth=1
	s_and_not1_saveexec_b32 s0, s15
	s_delay_alu instid0(SALU_CYCLE_1)
	s_or_b32 exec_lo, exec_lo, s0
.LBB6_62:                               ;   in Loop: Header=BB6_32 Depth=1
	s_and_not1_saveexec_b32 s0, s14
	s_delay_alu instid0(SALU_CYCLE_1) | instskip(SKIP_3) | instid1(VALU_DEP_2)
	s_or_b32 exec_lo, exec_lo, s0
	v_mul_f32_e32 v9, v12, v21
	v_add_nc_u32_e32 v13, 2, v22
	s_mov_b32 s0, exec_lo
	v_mul_f32_e32 v9, v9, v16
	global_store_b8 v13, v10, s[2:3]
	v_mul_f32_e32 v9, v23, v9
	s_delay_alu instid0(VALU_DEP_1) | instskip(NEXT) | instid1(VALU_DEP_1)
	v_minmax_f32 v12, v9, s13, 0xc3600000
	v_lshrrev_b32_e32 v11, 24, v12
	v_and_b32_e32 v17, 0x7f800000, v12
	s_delay_alu instid0(VALU_DEP_2) | instskip(NEXT) | instid1(VALU_DEP_2)
	v_or_b32_e32 v9, 0x7f, v11
	v_cmpx_ne_u64_e32 0x7f800000, v[17:18]
	s_xor_b32 s14, exec_lo, s0
	s_cbranch_execz .LBB6_72
; %bb.63:                               ;   in Loop: Header=BB6_32 Depth=1
	v_and_b32_e32 v17, 0x7fffffff, v12
	s_mov_b32 s0, exec_lo
	s_delay_alu instid0(VALU_DEP_1)
	v_cmpx_gt_u64_e32 0x43700001, v[17:18]
	s_xor_b32 s15, exec_lo, s0
	s_cbranch_execz .LBB6_71
; %bb.64:                               ;   in Loop: Header=BB6_32 Depth=1
	v_mov_b32_e32 v9, 0
	s_mov_b32 s16, exec_lo
	v_cmpx_ne_u32_e32 0, v12
	s_cbranch_execz .LBB6_70
; %bb.65:                               ;   in Loop: Header=BB6_32 Depth=1
	v_bfe_u32 v14, v12, 23, 8
	v_and_b32_e32 v10, 0x7fffff, v12
	s_delay_alu instid0(VALU_DEP_2) | instskip(SKIP_2) | instid1(VALU_DEP_3)
	v_sub_nc_u32_e64 v9, 0x78, v14 clamp
	v_cmp_eq_u32_e32 vcc_lo, 0, v14
	v_add_nc_u32_e32 v14, 0xffffff89, v14
	v_cndmask_b32_e64 v19, v9, 0x77, vcc_lo
	v_or_b32_e32 v9, 0x800000, v10
	s_delay_alu instid0(VALU_DEP_1) | instskip(NEXT) | instid1(VALU_DEP_1)
	v_dual_cndmask_b32 v17, v9, v10 :: v_dual_add_nc_u32 v12, 20, v19
	v_lshlrev_b64 v[9:10], v12, -1
	v_add_nc_u32_e32 v12, 19, v19
	s_delay_alu instid0(VALU_DEP_3) | instskip(NEXT) | instid1(VALU_DEP_2)
	v_lshrrev_b64 v[15:16], v19, v[17:18]
	v_lshlrev_b64 v[12:13], v12, 1
	s_delay_alu instid0(VALU_DEP_4) | instskip(NEXT) | instid1(VALU_DEP_1)
	v_not_b32_e32 v9, v9
	v_dual_mov_b32 v10, v18 :: v_dual_and_b32 v9, v17, v9
	s_delay_alu instid0(VALU_DEP_4) | instskip(NEXT) | instid1(VALU_DEP_2)
	v_and_b32_e32 v17, 0x100000, v15
	v_cmp_eq_u64_e64 s0, v[9:10], v[12:13]
	s_delay_alu instid0(VALU_DEP_2) | instskip(SKIP_2) | instid1(VALU_DEP_3)
	v_cmp_eq_u64_e64 s1, 0, v[17:18]
	v_cndmask_b32_e64 v9, v14, 0xffffff8a, vcc_lo
	v_lshrrev_b32_e32 v10, 23, v15
	s_and_b32 vcc_lo, s1, s0
	s_delay_alu instid0(VALU_DEP_1) | instskip(SKIP_2) | instid1(VALU_DEP_2)
	v_add3_u32 v13, v9, v19, v10
	v_subrev_co_ci_u32_e32 v12, vcc_lo, 0, v15, vcc_lo
	s_mov_b32 s0, exec_lo
	v_add_nc_u32_e32 v14, -1, v13
	s_delay_alu instid0(VALU_DEP_2) | instskip(NEXT) | instid1(VALU_DEP_1)
	v_and_b32_e32 v9, 0xfffff, v12
                                        ; implicit-def: $vgpr12
	v_add_co_u32 v9, vcc_lo, v9, v15
	v_add_co_ci_u32_e32 v10, vcc_lo, 0, v16, vcc_lo
	s_delay_alu instid0(VALU_DEP_4)
	v_cmpx_ne_u32_e32 0, v14
	s_xor_b32 s0, exec_lo, s0
; %bb.66:                               ;   in Loop: Header=BB6_32 Depth=1
	s_delay_alu instid0(VALU_DEP_3) | instskip(SKIP_1) | instid1(VALU_DEP_2)
	v_and_b32_e32 v17, 0x1000000, v9
	v_bfe_u32 v12, v9, 24, 1
	v_cmp_eq_u64_e32 vcc_lo, 0, v[17:18]
	s_delay_alu instid0(VALU_DEP_2)
	v_lshrrev_b64 v[9:10], v12, v[9:10]
	v_cndmask_b32_e32 v12, v13, v14, vcc_lo
; %bb.67:                               ;   in Loop: Header=BB6_32 Depth=1
	s_and_not1_saveexec_b32 s0, s0
; %bb.68:                               ;   in Loop: Header=BB6_32 Depth=1
	s_delay_alu instid0(VALU_DEP_2)
	v_bfe_u32 v12, v9, 23, 1
; %bb.69:                               ;   in Loop: Header=BB6_32 Depth=1
	s_or_b32 exec_lo, exec_lo, s0
	s_delay_alu instid0(VALU_DEP_3) | instskip(NEXT) | instid1(VALU_DEP_2)
	v_lshrrev_b64 v[9:10], 20, v[9:10]
	v_cmp_gt_i32_e32 vcc_lo, 16, v12
	v_and_b32_e32 v11, 0x80, v11
	v_min_i32_e32 v13, 15, v12
	v_cmp_eq_u32_e64 s0, 0, v12
	v_dual_cndmask_b32 v10, 0, v10 :: v_dual_cndmask_b32 v9, 7, v9
	s_delay_alu instid0(VALU_DEP_3) | instskip(NEXT) | instid1(VALU_DEP_2)
	v_lshl_or_b32 v11, v13, 3, v11
	v_cmp_eq_u64_e32 vcc_lo, 0, v[9:10]
	s_delay_alu instid0(VALU_DEP_2)
	v_and_or_b32 v9, v9, 7, v11
	s_and_b32 s0, s0, vcc_lo
	s_delay_alu instid0(VALU_DEP_1) | instid1(SALU_CYCLE_1)
	v_cndmask_b32_e64 v9, v9, 0, s0
.LBB6_70:                               ;   in Loop: Header=BB6_32 Depth=1
	s_or_b32 exec_lo, exec_lo, s16
.LBB6_71:                               ;   in Loop: Header=BB6_32 Depth=1
	s_and_not1_saveexec_b32 s0, s15
	s_delay_alu instid0(SALU_CYCLE_1)
	s_or_b32 exec_lo, exec_lo, s0
.LBB6_72:                               ;   in Loop: Header=BB6_32 Depth=1
	s_and_not1_saveexec_b32 s0, s14
	s_delay_alu instid0(SALU_CYCLE_1)
	s_or_b32 exec_lo, exec_lo, s0
	s_waitcnt vmcnt(1)
	v_mul_f32_e32 v1, v1, v21
	v_add_nc_u32_e32 v11, 3, v22
	s_mov_b32 s0, exec_lo
	s_waitcnt vmcnt(0)
	s_delay_alu instid0(VALU_DEP_2) | instskip(SKIP_2) | instid1(VALU_DEP_1)
	v_mul_f32_e32 v1, v1, v5
	global_store_b8 v11, v9, s[2:3]
	v_mul_f32_e32 v1, v23, v1
	v_minmax_f32 v5, v1, s13, 0xc3600000
	s_delay_alu instid0(VALU_DEP_1) | instskip(SKIP_1) | instid1(VALU_DEP_2)
	v_lshrrev_b32_e32 v1, 24, v5
	v_and_b32_e32 v17, 0x7f800000, v5
	v_or_b32_e32 v10, 0x7f, v1
	s_delay_alu instid0(VALU_DEP_2)
	v_cmpx_ne_u64_e32 0x7f800000, v[17:18]
	s_xor_b32 s14, exec_lo, s0
	s_cbranch_execz .LBB6_82
; %bb.73:                               ;   in Loop: Header=BB6_32 Depth=1
	v_and_b32_e32 v17, 0x7fffffff, v5
	s_mov_b32 s0, exec_lo
	s_delay_alu instid0(VALU_DEP_1)
	v_cmpx_gt_u64_e32 0x43700001, v[17:18]
	s_xor_b32 s15, exec_lo, s0
	s_cbranch_execz .LBB6_81
; %bb.74:                               ;   in Loop: Header=BB6_32 Depth=1
	v_mov_b32_e32 v10, 0
	s_mov_b32 s16, exec_lo
	v_cmpx_ne_u32_e32 0, v5
	s_cbranch_execz .LBB6_80
; %bb.75:                               ;   in Loop: Header=BB6_32 Depth=1
	v_bfe_u32 v15, v5, 23, 8
	v_and_b32_e32 v5, 0x7fffff, v5
	s_delay_alu instid0(VALU_DEP_2) | instskip(SKIP_1) | instid1(VALU_DEP_2)
	v_sub_nc_u32_e64 v9, 0x78, v15 clamp
	v_cmp_eq_u32_e32 vcc_lo, 0, v15
	v_cndmask_b32_e64 v16, v9, 0x77, vcc_lo
	s_delay_alu instid0(VALU_DEP_4) | instskip(NEXT) | instid1(VALU_DEP_1)
	v_or_b32_e32 v9, 0x800000, v5
	v_dual_cndmask_b32 v17, v9, v5 :: v_dual_add_nc_u32 v10, 20, v16
	v_add_nc_u32_e32 v5, 19, v16
	s_delay_alu instid0(VALU_DEP_2) | instskip(NEXT) | instid1(VALU_DEP_3)
	v_lshlrev_b64 v[9:10], v10, -1
	v_lshrrev_b64 v[13:14], v16, v[17:18]
	s_delay_alu instid0(VALU_DEP_3) | instskip(SKIP_1) | instid1(VALU_DEP_4)
	v_lshlrev_b64 v[11:12], v5, 1
	v_dual_mov_b32 v10, v18 :: v_dual_add_nc_u32 v5, 0xffffff89, v15
	v_not_b32_e32 v9, v9
	s_delay_alu instid0(VALU_DEP_2) | instskip(NEXT) | instid1(VALU_DEP_2)
	v_cndmask_b32_e64 v5, v5, 0xffffff8a, vcc_lo
	v_and_b32_e32 v9, v17, v9
	v_and_b32_e32 v17, 0x100000, v13
	s_delay_alu instid0(VALU_DEP_2) | instskip(NEXT) | instid1(VALU_DEP_2)
	v_cmp_eq_u64_e64 s0, v[9:10], v[11:12]
	v_cmp_eq_u64_e64 s1, 0, v[17:18]
	v_lshrrev_b32_e32 v9, 23, v13
	s_delay_alu instid0(VALU_DEP_1) | instskip(NEXT) | instid1(VALU_DEP_3)
	v_add3_u32 v11, v5, v16, v9
	s_and_b32 vcc_lo, s1, s0
	s_mov_b32 s0, exec_lo
	v_subrev_co_ci_u32_e32 v10, vcc_lo, 0, v13, vcc_lo
	s_delay_alu instid0(VALU_DEP_2) | instskip(NEXT) | instid1(VALU_DEP_2)
	v_add_nc_u32_e32 v12, -1, v11
	v_and_b32_e32 v5, 0xfffff, v10
	s_delay_alu instid0(VALU_DEP_1) | instskip(SKIP_1) | instid1(VALU_DEP_4)
	v_add_co_u32 v9, vcc_lo, v5, v13
	v_add_co_ci_u32_e32 v10, vcc_lo, 0, v14, vcc_lo
                                        ; implicit-def: $vgpr5
	v_cmpx_ne_u32_e32 0, v12
	s_xor_b32 s0, exec_lo, s0
; %bb.76:                               ;   in Loop: Header=BB6_32 Depth=1
	s_delay_alu instid0(VALU_DEP_3) | instskip(SKIP_1) | instid1(VALU_DEP_2)
	v_and_b32_e32 v17, 0x1000000, v9
	v_bfe_u32 v5, v9, 24, 1
	v_cmp_eq_u64_e32 vcc_lo, 0, v[17:18]
	s_delay_alu instid0(VALU_DEP_2)
	v_lshrrev_b64 v[9:10], v5, v[9:10]
	v_cndmask_b32_e32 v5, v11, v12, vcc_lo
; %bb.77:                               ;   in Loop: Header=BB6_32 Depth=1
	s_and_not1_saveexec_b32 s0, s0
; %bb.78:                               ;   in Loop: Header=BB6_32 Depth=1
	s_delay_alu instid0(VALU_DEP_2)
	v_bfe_u32 v5, v9, 23, 1
; %bb.79:                               ;   in Loop: Header=BB6_32 Depth=1
	s_or_b32 exec_lo, exec_lo, s0
	s_delay_alu instid0(VALU_DEP_3) | instskip(NEXT) | instid1(VALU_DEP_2)
	v_lshrrev_b64 v[9:10], 20, v[9:10]
	v_cmp_gt_i32_e32 vcc_lo, 16, v5
	v_and_b32_e32 v1, 0x80, v1
	v_min_i32_e32 v11, 15, v5
	v_cmp_eq_u32_e64 s0, 0, v5
	v_dual_cndmask_b32 v10, 0, v10 :: v_dual_cndmask_b32 v9, 7, v9
	s_delay_alu instid0(VALU_DEP_3) | instskip(NEXT) | instid1(VALU_DEP_2)
	v_lshl_or_b32 v1, v11, 3, v1
	v_cmp_eq_u64_e32 vcc_lo, 0, v[9:10]
	s_delay_alu instid0(VALU_DEP_2)
	v_and_or_b32 v1, v9, 7, v1
	s_and_b32 s0, s0, vcc_lo
	s_delay_alu instid0(VALU_DEP_1) | instid1(SALU_CYCLE_1)
	v_cndmask_b32_e64 v10, v1, 0, s0
.LBB6_80:                               ;   in Loop: Header=BB6_32 Depth=1
	s_or_b32 exec_lo, exec_lo, s16
.LBB6_81:                               ;   in Loop: Header=BB6_32 Depth=1
	s_and_not1_saveexec_b32 s0, s15
	s_delay_alu instid0(SALU_CYCLE_1)
	s_or_b32 exec_lo, exec_lo, s0
.LBB6_82:                               ;   in Loop: Header=BB6_32 Depth=1
	s_and_not1_saveexec_b32 s0, s14
	s_delay_alu instid0(SALU_CYCLE_1) | instskip(SKIP_2) | instid1(VALU_DEP_1)
	s_or_b32 exec_lo, exec_lo, s0
	v_mul_f32_e32 v1, v2, v21
	s_mov_b32 s0, exec_lo
	v_mul_f32_e32 v1, v1, v6
	s_delay_alu instid0(VALU_DEP_1) | instskip(SKIP_2) | instid1(VALU_DEP_1)
	v_dual_mul_f32 v1, v23, v1 :: v_dual_add_nc_u32 v6, 4, v22
	global_store_b8 v6, v10, s[2:3]
	v_minmax_f32 v2, v1, s13, 0xc3600000
	v_lshrrev_b32_e32 v5, 24, v2
	v_and_b32_e32 v17, 0x7f800000, v2
	s_delay_alu instid0(VALU_DEP_2) | instskip(NEXT) | instid1(VALU_DEP_2)
	v_or_b32_e32 v1, 0x7f, v5
	v_cmpx_ne_u64_e32 0x7f800000, v[17:18]
	s_xor_b32 s14, exec_lo, s0
	s_cbranch_execz .LBB6_92
; %bb.83:                               ;   in Loop: Header=BB6_32 Depth=1
	v_and_b32_e32 v17, 0x7fffffff, v2
	s_mov_b32 s0, exec_lo
	s_delay_alu instid0(VALU_DEP_1)
	v_cmpx_gt_u64_e32 0x43700001, v[17:18]
	s_xor_b32 s15, exec_lo, s0
	s_cbranch_execz .LBB6_91
; %bb.84:                               ;   in Loop: Header=BB6_32 Depth=1
	v_mov_b32_e32 v1, 0
	s_mov_b32 s16, exec_lo
	v_cmpx_ne_u32_e32 0, v2
	s_cbranch_execz .LBB6_90
; %bb.85:                               ;   in Loop: Header=BB6_32 Depth=1
	v_bfe_u32 v6, v2, 23, 8
	v_and_b32_e32 v2, 0x7fffff, v2
	s_delay_alu instid0(VALU_DEP_2) | instskip(SKIP_2) | instid1(VALU_DEP_3)
	v_sub_nc_u32_e64 v1, 0x78, v6 clamp
	v_cmp_eq_u32_e32 vcc_lo, 0, v6
	v_add_nc_u32_e32 v6, 0xffffff89, v6
	v_cndmask_b32_e64 v13, v1, 0x77, vcc_lo
	v_or_b32_e32 v1, 0x800000, v2
	s_delay_alu instid0(VALU_DEP_2) | instskip(NEXT) | instid1(VALU_DEP_2)
	v_add_nc_u32_e32 v9, 20, v13
	v_cndmask_b32_e32 v17, v1, v2, vcc_lo
	s_delay_alu instid0(VALU_DEP_2) | instskip(SKIP_1) | instid1(VALU_DEP_3)
	v_lshlrev_b64 v[1:2], v9, -1
	v_add_nc_u32_e32 v9, 19, v13
	v_lshrrev_b64 v[11:12], v13, v[17:18]
	v_mov_b32_e32 v2, v18
	s_delay_alu instid0(VALU_DEP_3) | instskip(SKIP_1) | instid1(VALU_DEP_1)
	v_lshlrev_b64 v[9:10], v9, 1
	v_not_b32_e32 v1, v1
	v_and_b32_e32 v1, v17, v1
	v_and_b32_e32 v17, 0x100000, v11
	s_delay_alu instid0(VALU_DEP_2) | instskip(NEXT) | instid1(VALU_DEP_2)
	v_cmp_eq_u64_e64 s0, v[1:2], v[9:10]
	v_cmp_eq_u64_e64 s1, 0, v[17:18]
	v_cndmask_b32_e64 v1, v6, 0xffffff8a, vcc_lo
	v_lshrrev_b32_e32 v2, 23, v11
	s_delay_alu instid0(VALU_DEP_3) | instskip(NEXT) | instid1(VALU_DEP_1)
	s_and_b32 vcc_lo, s1, s0
	v_add3_u32 v9, v1, v13, v2
	v_subrev_co_ci_u32_e32 v6, vcc_lo, 0, v11, vcc_lo
	s_mov_b32 s0, exec_lo
	s_delay_alu instid0(VALU_DEP_2) | instskip(NEXT) | instid1(VALU_DEP_2)
	v_add_nc_u32_e32 v10, -1, v9
	v_and_b32_e32 v1, 0xfffff, v6
                                        ; implicit-def: $vgpr6
	s_delay_alu instid0(VALU_DEP_1) | instskip(SKIP_1) | instid1(VALU_DEP_4)
	v_add_co_u32 v1, vcc_lo, v1, v11
	v_add_co_ci_u32_e32 v2, vcc_lo, 0, v12, vcc_lo
	v_cmpx_ne_u32_e32 0, v10
	s_xor_b32 s0, exec_lo, s0
; %bb.86:                               ;   in Loop: Header=BB6_32 Depth=1
	s_delay_alu instid0(VALU_DEP_3) | instskip(SKIP_1) | instid1(VALU_DEP_2)
	v_and_b32_e32 v17, 0x1000000, v1
	v_bfe_u32 v6, v1, 24, 1
	v_cmp_eq_u64_e32 vcc_lo, 0, v[17:18]
	s_delay_alu instid0(VALU_DEP_2)
	v_lshrrev_b64 v[1:2], v6, v[1:2]
	v_cndmask_b32_e32 v6, v9, v10, vcc_lo
; %bb.87:                               ;   in Loop: Header=BB6_32 Depth=1
	s_and_not1_saveexec_b32 s0, s0
; %bb.88:                               ;   in Loop: Header=BB6_32 Depth=1
	s_delay_alu instid0(VALU_DEP_2)
	v_bfe_u32 v6, v1, 23, 1
; %bb.89:                               ;   in Loop: Header=BB6_32 Depth=1
	s_or_b32 exec_lo, exec_lo, s0
	s_delay_alu instid0(VALU_DEP_3) | instskip(NEXT) | instid1(VALU_DEP_2)
	v_lshrrev_b64 v[1:2], 20, v[1:2]
	v_cmp_gt_i32_e32 vcc_lo, 16, v6
	v_and_b32_e32 v5, 0x80, v5
	v_min_i32_e32 v9, 15, v6
	v_cmp_eq_u32_e64 s0, 0, v6
	v_dual_cndmask_b32 v2, 0, v2 :: v_dual_cndmask_b32 v1, 7, v1
	s_delay_alu instid0(VALU_DEP_3) | instskip(NEXT) | instid1(VALU_DEP_2)
	v_lshl_or_b32 v5, v9, 3, v5
	v_cmp_eq_u64_e32 vcc_lo, 0, v[1:2]
	s_delay_alu instid0(VALU_DEP_2)
	v_and_or_b32 v1, v1, 7, v5
	s_and_b32 s0, s0, vcc_lo
	s_delay_alu instid0(VALU_DEP_1) | instid1(SALU_CYCLE_1)
	v_cndmask_b32_e64 v1, v1, 0, s0
.LBB6_90:                               ;   in Loop: Header=BB6_32 Depth=1
	s_or_b32 exec_lo, exec_lo, s16
.LBB6_91:                               ;   in Loop: Header=BB6_32 Depth=1
	s_and_not1_saveexec_b32 s0, s15
	s_delay_alu instid0(SALU_CYCLE_1)
	s_or_b32 exec_lo, exec_lo, s0
.LBB6_92:                               ;   in Loop: Header=BB6_32 Depth=1
	s_and_not1_saveexec_b32 s0, s14
	s_delay_alu instid0(SALU_CYCLE_1) | instskip(SKIP_3) | instid1(VALU_DEP_2)
	s_or_b32 exec_lo, exec_lo, s0
	v_mul_f32_e32 v2, v3, v21
	v_add_nc_u32_e32 v6, 5, v22
	s_mov_b32 s0, exec_lo
	v_mul_f32_e32 v2, v2, v7
	global_store_b8 v6, v1, s[2:3]
	v_mul_f32_e32 v2, v23, v2
	s_delay_alu instid0(VALU_DEP_1) | instskip(NEXT) | instid1(VALU_DEP_1)
	v_minmax_f32 v5, v2, s13, 0xc3600000
	v_and_b32_e32 v17, 0x7f800000, v5
	v_lshrrev_b32_e32 v3, 24, v5
	s_delay_alu instid0(VALU_DEP_1) | instskip(NEXT) | instid1(VALU_DEP_3)
	v_or_b32_e32 v2, 0x7f, v3
	v_cmpx_ne_u64_e32 0x7f800000, v[17:18]
	s_xor_b32 s14, exec_lo, s0
	s_cbranch_execz .LBB6_102
; %bb.93:                               ;   in Loop: Header=BB6_32 Depth=1
	v_and_b32_e32 v17, 0x7fffffff, v5
	s_mov_b32 s0, exec_lo
	s_delay_alu instid0(VALU_DEP_1)
	v_cmpx_gt_u64_e32 0x43700001, v[17:18]
	s_xor_b32 s15, exec_lo, s0
	s_cbranch_execz .LBB6_101
; %bb.94:                               ;   in Loop: Header=BB6_32 Depth=1
	v_mov_b32_e32 v2, 0
	s_mov_b32 s16, exec_lo
	v_cmpx_ne_u32_e32 0, v5
	s_cbranch_execz .LBB6_100
; %bb.95:                               ;   in Loop: Header=BB6_32 Depth=1
	v_bfe_u32 v7, v5, 23, 8
	v_and_b32_e32 v2, 0x7fffff, v5
	s_delay_alu instid0(VALU_DEP_2) | instskip(SKIP_2) | instid1(VALU_DEP_3)
	v_sub_nc_u32_e64 v1, 0x78, v7 clamp
	v_cmp_eq_u32_e32 vcc_lo, 0, v7
	v_add_nc_u32_e32 v7, 0xffffff89, v7
	v_cndmask_b32_e64 v11, v1, 0x77, vcc_lo
	v_or_b32_e32 v1, 0x800000, v2
	s_delay_alu instid0(VALU_DEP_2) | instskip(NEXT) | instid1(VALU_DEP_2)
	v_add_nc_u32_e32 v5, 20, v11
	v_cndmask_b32_e32 v17, v1, v2, vcc_lo
	s_delay_alu instid0(VALU_DEP_2) | instskip(SKIP_1) | instid1(VALU_DEP_3)
	v_lshlrev_b64 v[1:2], v5, -1
	v_dual_mov_b32 v2, v18 :: v_dual_add_nc_u32 v5, 19, v11
	v_lshrrev_b64 v[9:10], v11, v[17:18]
	s_delay_alu instid0(VALU_DEP_3) | instskip(NEXT) | instid1(VALU_DEP_3)
	v_not_b32_e32 v1, v1
	v_lshlrev_b64 v[5:6], v5, 1
	s_delay_alu instid0(VALU_DEP_2) | instskip(NEXT) | instid1(VALU_DEP_4)
	v_and_b32_e32 v1, v17, v1
	v_and_b32_e32 v17, 0x100000, v9
	s_delay_alu instid0(VALU_DEP_2) | instskip(NEXT) | instid1(VALU_DEP_2)
	v_cmp_eq_u64_e64 s0, v[1:2], v[5:6]
	v_cmp_eq_u64_e64 s1, 0, v[17:18]
	v_cndmask_b32_e64 v1, v7, 0xffffff8a, vcc_lo
	v_lshrrev_b32_e32 v2, 23, v9
	s_delay_alu instid0(VALU_DEP_3) | instskip(NEXT) | instid1(VALU_DEP_1)
	s_and_b32 vcc_lo, s1, s0
	v_add3_u32 v6, v1, v11, v2
	v_subrev_co_ci_u32_e32 v5, vcc_lo, 0, v9, vcc_lo
	s_mov_b32 s0, exec_lo
	s_delay_alu instid0(VALU_DEP_2) | instskip(NEXT) | instid1(VALU_DEP_2)
	v_add_nc_u32_e32 v7, -1, v6
	v_and_b32_e32 v1, 0xfffff, v5
                                        ; implicit-def: $vgpr5
	s_delay_alu instid0(VALU_DEP_1) | instskip(SKIP_1) | instid1(VALU_DEP_4)
	v_add_co_u32 v1, vcc_lo, v1, v9
	v_add_co_ci_u32_e32 v2, vcc_lo, 0, v10, vcc_lo
	v_cmpx_ne_u32_e32 0, v7
	s_xor_b32 s0, exec_lo, s0
; %bb.96:                               ;   in Loop: Header=BB6_32 Depth=1
	s_delay_alu instid0(VALU_DEP_3) | instskip(SKIP_1) | instid1(VALU_DEP_2)
	v_and_b32_e32 v17, 0x1000000, v1
	v_bfe_u32 v5, v1, 24, 1
	v_cmp_eq_u64_e32 vcc_lo, 0, v[17:18]
	s_delay_alu instid0(VALU_DEP_2)
	v_lshrrev_b64 v[1:2], v5, v[1:2]
	v_cndmask_b32_e32 v5, v6, v7, vcc_lo
; %bb.97:                               ;   in Loop: Header=BB6_32 Depth=1
	s_and_not1_saveexec_b32 s0, s0
; %bb.98:                               ;   in Loop: Header=BB6_32 Depth=1
	s_delay_alu instid0(VALU_DEP_2)
	v_bfe_u32 v5, v1, 23, 1
; %bb.99:                               ;   in Loop: Header=BB6_32 Depth=1
	s_or_b32 exec_lo, exec_lo, s0
	s_delay_alu instid0(VALU_DEP_3) | instskip(NEXT) | instid1(VALU_DEP_2)
	v_lshrrev_b64 v[1:2], 20, v[1:2]
	v_cmp_gt_i32_e32 vcc_lo, 16, v5
	v_and_b32_e32 v3, 0x80, v3
	v_min_i32_e32 v6, 15, v5
	v_cmp_eq_u32_e64 s0, 0, v5
	v_dual_cndmask_b32 v2, 0, v2 :: v_dual_cndmask_b32 v1, 7, v1
	s_delay_alu instid0(VALU_DEP_3) | instskip(NEXT) | instid1(VALU_DEP_2)
	v_lshl_or_b32 v3, v6, 3, v3
	v_cmp_eq_u64_e32 vcc_lo, 0, v[1:2]
	s_delay_alu instid0(VALU_DEP_2)
	v_and_or_b32 v1, v1, 7, v3
	s_and_b32 s0, s0, vcc_lo
	s_delay_alu instid0(VALU_DEP_1) | instid1(SALU_CYCLE_1)
	v_cndmask_b32_e64 v2, v1, 0, s0
.LBB6_100:                              ;   in Loop: Header=BB6_32 Depth=1
	s_or_b32 exec_lo, exec_lo, s16
.LBB6_101:                              ;   in Loop: Header=BB6_32 Depth=1
	s_and_not1_saveexec_b32 s0, s15
	s_delay_alu instid0(SALU_CYCLE_1)
	s_or_b32 exec_lo, exec_lo, s0
.LBB6_102:                              ;   in Loop: Header=BB6_32 Depth=1
	s_and_not1_saveexec_b32 s0, s14
	s_delay_alu instid0(SALU_CYCLE_1) | instskip(SKIP_3) | instid1(VALU_DEP_2)
	s_or_b32 exec_lo, exec_lo, s0
	v_mul_f32_e32 v1, v4, v21
	v_add_nc_u32_e32 v5, 6, v22
	s_mov_b32 s0, exec_lo
	v_mul_f32_e32 v1, v1, v8
	global_store_b8 v5, v2, s[2:3]
	v_mul_f32_e32 v1, v23, v1
	s_delay_alu instid0(VALU_DEP_1) | instskip(NEXT) | instid1(VALU_DEP_1)
	v_minmax_f32 v4, v1, s13, 0xc3600000
	v_lshrrev_b32_e32 v3, 24, v4
	v_and_b32_e32 v17, 0x7f800000, v4
	s_delay_alu instid0(VALU_DEP_2) | instskip(NEXT) | instid1(VALU_DEP_2)
	v_or_b32_e32 v1, 0x7f, v3
	v_cmpx_ne_u64_e32 0x7f800000, v[17:18]
	s_xor_b32 s14, exec_lo, s0
	s_cbranch_execz .LBB6_31
; %bb.103:                              ;   in Loop: Header=BB6_32 Depth=1
	v_and_b32_e32 v17, 0x7fffffff, v4
	s_mov_b32 s0, exec_lo
	s_delay_alu instid0(VALU_DEP_1)
	v_cmpx_gt_u64_e32 0x43700001, v[17:18]
	s_xor_b32 s15, exec_lo, s0
	s_cbranch_execz .LBB6_30
; %bb.104:                              ;   in Loop: Header=BB6_32 Depth=1
	v_mov_b32_e32 v1, 0
	s_mov_b32 s16, exec_lo
	v_cmpx_ne_u32_e32 0, v4
	s_cbranch_execz .LBB6_29
; %bb.105:                              ;   in Loop: Header=BB6_32 Depth=1
	v_bfe_u32 v6, v4, 23, 8
	v_and_b32_e32 v2, 0x7fffff, v4
	s_delay_alu instid0(VALU_DEP_2) | instskip(SKIP_2) | instid1(VALU_DEP_3)
	v_sub_nc_u32_e64 v1, 0x78, v6 clamp
	v_cmp_eq_u32_e32 vcc_lo, 0, v6
	v_add_nc_u32_e32 v6, 0xffffff89, v6
	v_cndmask_b32_e64 v9, v1, 0x77, vcc_lo
	v_or_b32_e32 v1, 0x800000, v2
	s_delay_alu instid0(VALU_DEP_1) | instskip(NEXT) | instid1(VALU_DEP_1)
	v_dual_cndmask_b32 v17, v1, v2 :: v_dual_add_nc_u32 v4, 20, v9
	v_lshlrev_b64 v[1:2], v4, -1
	v_add_nc_u32_e32 v4, 19, v9
	s_delay_alu instid0(VALU_DEP_3) | instskip(NEXT) | instid1(VALU_DEP_2)
	v_lshrrev_b64 v[7:8], v9, v[17:18]
	v_lshlrev_b64 v[4:5], v4, 1
	s_delay_alu instid0(VALU_DEP_4) | instskip(NEXT) | instid1(VALU_DEP_1)
	v_not_b32_e32 v1, v1
	v_dual_mov_b32 v2, v18 :: v_dual_and_b32 v1, v17, v1
	s_delay_alu instid0(VALU_DEP_4) | instskip(NEXT) | instid1(VALU_DEP_2)
	v_and_b32_e32 v17, 0x100000, v7
	v_cmp_eq_u64_e64 s0, v[1:2], v[4:5]
	s_delay_alu instid0(VALU_DEP_2) | instskip(SKIP_2) | instid1(VALU_DEP_3)
	v_cmp_eq_u64_e64 s1, 0, v[17:18]
	v_cndmask_b32_e64 v1, v6, 0xffffff8a, vcc_lo
	v_lshrrev_b32_e32 v2, 23, v7
	s_and_b32 vcc_lo, s1, s0
	s_delay_alu instid0(VALU_DEP_1) | instskip(SKIP_2) | instid1(VALU_DEP_2)
	v_add3_u32 v5, v1, v9, v2
	v_subrev_co_ci_u32_e32 v4, vcc_lo, 0, v7, vcc_lo
	s_mov_b32 s0, exec_lo
	v_add_nc_u32_e32 v6, -1, v5
	s_delay_alu instid0(VALU_DEP_2) | instskip(NEXT) | instid1(VALU_DEP_1)
	v_and_b32_e32 v1, 0xfffff, v4
                                        ; implicit-def: $vgpr4
	v_add_co_u32 v1, vcc_lo, v1, v7
	v_add_co_ci_u32_e32 v2, vcc_lo, 0, v8, vcc_lo
	s_delay_alu instid0(VALU_DEP_4)
	v_cmpx_ne_u32_e32 0, v6
	s_xor_b32 s0, exec_lo, s0
; %bb.106:                              ;   in Loop: Header=BB6_32 Depth=1
	s_delay_alu instid0(VALU_DEP_3) | instskip(SKIP_1) | instid1(VALU_DEP_2)
	v_and_b32_e32 v17, 0x1000000, v1
	v_bfe_u32 v4, v1, 24, 1
	v_cmp_eq_u64_e32 vcc_lo, 0, v[17:18]
	s_delay_alu instid0(VALU_DEP_2)
	v_lshrrev_b64 v[1:2], v4, v[1:2]
	v_cndmask_b32_e32 v4, v5, v6, vcc_lo
; %bb.107:                              ;   in Loop: Header=BB6_32 Depth=1
	s_and_not1_saveexec_b32 s0, s0
	s_cbranch_execz .LBB6_28
; %bb.108:                              ;   in Loop: Header=BB6_32 Depth=1
	s_delay_alu instid0(VALU_DEP_2)
	v_bfe_u32 v4, v1, 23, 1
	s_branch .LBB6_28
.LBB6_109:
	s_nop 0
	s_sendmsg sendmsg(MSG_DEALLOC_VGPRS)
	s_endpgm
	.section	.rodata,"a",@progbits
	.p2align	6, 0x0
	.amdhsa_kernel _ZN4vllm32rms_norm_static_fp8_quant_kernelIfN3c1015Float8_e4m3fnuzELi8EEEvPT0_PKT_iS7_PKffii
		.amdhsa_group_segment_fixed_size 132
		.amdhsa_private_segment_fixed_size 0
		.amdhsa_kernarg_size 312
		.amdhsa_user_sgpr_count 15
		.amdhsa_user_sgpr_dispatch_ptr 0
		.amdhsa_user_sgpr_queue_ptr 0
		.amdhsa_user_sgpr_kernarg_segment_ptr 1
		.amdhsa_user_sgpr_dispatch_id 0
		.amdhsa_user_sgpr_private_segment_size 0
		.amdhsa_wavefront_size32 1
		.amdhsa_uses_dynamic_stack 0
		.amdhsa_enable_private_segment 0
		.amdhsa_system_sgpr_workgroup_id_x 1
		.amdhsa_system_sgpr_workgroup_id_y 0
		.amdhsa_system_sgpr_workgroup_id_z 0
		.amdhsa_system_sgpr_workgroup_info 0
		.amdhsa_system_vgpr_workitem_id 0
		.amdhsa_next_free_vgpr 31
		.amdhsa_next_free_sgpr 20
		.amdhsa_reserve_vcc 1
		.amdhsa_float_round_mode_32 0
		.amdhsa_float_round_mode_16_64 0
		.amdhsa_float_denorm_mode_32 3
		.amdhsa_float_denorm_mode_16_64 3
		.amdhsa_dx10_clamp 1
		.amdhsa_ieee_mode 1
		.amdhsa_fp16_overflow 0
		.amdhsa_workgroup_processor_mode 1
		.amdhsa_memory_ordered 1
		.amdhsa_forward_progress 0
		.amdhsa_shared_vgpr_count 0
		.amdhsa_exception_fp_ieee_invalid_op 0
		.amdhsa_exception_fp_denorm_src 0
		.amdhsa_exception_fp_ieee_div_zero 0
		.amdhsa_exception_fp_ieee_overflow 0
		.amdhsa_exception_fp_ieee_underflow 0
		.amdhsa_exception_fp_ieee_inexact 0
		.amdhsa_exception_int_div_zero 0
	.end_amdhsa_kernel
	.section	.text._ZN4vllm32rms_norm_static_fp8_quant_kernelIfN3c1015Float8_e4m3fnuzELi8EEEvPT0_PKT_iS7_PKffii,"axG",@progbits,_ZN4vllm32rms_norm_static_fp8_quant_kernelIfN3c1015Float8_e4m3fnuzELi8EEEvPT0_PKT_iS7_PKffii,comdat
.Lfunc_end6:
	.size	_ZN4vllm32rms_norm_static_fp8_quant_kernelIfN3c1015Float8_e4m3fnuzELi8EEEvPT0_PKT_iS7_PKffii, .Lfunc_end6-_ZN4vllm32rms_norm_static_fp8_quant_kernelIfN3c1015Float8_e4m3fnuzELi8EEEvPT0_PKT_iS7_PKffii
                                        ; -- End function
	.section	.AMDGPU.csdata,"",@progbits
; Kernel info:
; codeLenInByte = 6324
; NumSgprs: 22
; NumVgprs: 31
; ScratchSize: 0
; MemoryBound: 1
; FloatMode: 240
; IeeeMode: 1
; LDSByteSize: 132 bytes/workgroup (compile time only)
; SGPRBlocks: 2
; VGPRBlocks: 3
; NumSGPRsForWavesPerEU: 22
; NumVGPRsForWavesPerEU: 31
; Occupancy: 16
; WaveLimiterHint : 0
; COMPUTE_PGM_RSRC2:SCRATCH_EN: 0
; COMPUTE_PGM_RSRC2:USER_SGPR: 15
; COMPUTE_PGM_RSRC2:TRAP_HANDLER: 0
; COMPUTE_PGM_RSRC2:TGID_X_EN: 1
; COMPUTE_PGM_RSRC2:TGID_Y_EN: 0
; COMPUTE_PGM_RSRC2:TGID_Z_EN: 0
; COMPUTE_PGM_RSRC2:TIDIG_COMP_CNT: 0
	.section	.text._ZN4vllm32rms_norm_static_fp8_quant_kernelIfN3c1015Float8_e4m3fnuzELi4EEEvPT0_PKT_iS7_PKffii,"axG",@progbits,_ZN4vllm32rms_norm_static_fp8_quant_kernelIfN3c1015Float8_e4m3fnuzELi4EEEvPT0_PKT_iS7_PKffii,comdat
	.protected	_ZN4vllm32rms_norm_static_fp8_quant_kernelIfN3c1015Float8_e4m3fnuzELi4EEEvPT0_PKT_iS7_PKffii ; -- Begin function _ZN4vllm32rms_norm_static_fp8_quant_kernelIfN3c1015Float8_e4m3fnuzELi4EEEvPT0_PKT_iS7_PKffii
	.globl	_ZN4vllm32rms_norm_static_fp8_quant_kernelIfN3c1015Float8_e4m3fnuzELi4EEEvPT0_PKT_iS7_PKffii
	.p2align	8
	.type	_ZN4vllm32rms_norm_static_fp8_quant_kernelIfN3c1015Float8_e4m3fnuzELi4EEEvPT0_PKT_iS7_PKffii,@function
_ZN4vllm32rms_norm_static_fp8_quant_kernelIfN3c1015Float8_e4m3fnuzELi4EEEvPT0_PKT_iS7_PKffii: ; @_ZN4vllm32rms_norm_static_fp8_quant_kernelIfN3c1015Float8_e4m3fnuzELi4EEEvPT0_PKT_iS7_PKffii
; %bb.0:
	s_clause 0x3
	s_load_b32 s2, s[0:1], 0x10
	s_load_b64 s[4:5], s[0:1], 0x8
	s_load_b32 s8, s[0:1], 0x44
	s_load_b32 s13, s[0:1], 0x30
	s_mov_b32 s3, 0
	s_waitcnt lgkmcnt(0)
	s_mul_i32 s2, s15, s2
	s_delay_alu instid0(SALU_CYCLE_1) | instskip(NEXT) | instid1(SALU_CYCLE_1)
	s_lshl_b64 s[6:7], s[2:3], 2
	s_add_u32 s10, s4, s6
	s_addc_u32 s11, s5, s7
	s_and_b32 s2, s10, 15
	s_and_b32 s12, s8, 0xffff
	s_cmp_lg_u64 s[2:3], 0
	s_cselect_b32 s2, -1, 0
	s_and_b32 s3, s13, 3
	s_delay_alu instid0(SALU_CYCLE_1) | instskip(SKIP_1) | instid1(SALU_CYCLE_1)
	s_cmp_lg_u32 s3, 0
	s_cselect_b32 s3, -1, 0
	s_or_b32 s2, s2, s3
	s_delay_alu instid0(SALU_CYCLE_1)
	s_and_b32 vcc_lo, exec_lo, s2
	s_cbranch_vccz .LBB7_14
; %bb.1:
	s_sub_i32 s2, 0, s10
	v_mov_b32_e32 v4, 0
	s_bfe_u32 s2, s2, 0x20002
	s_mov_b32 s3, exec_lo
	s_min_i32 s8, s2, s13
	s_delay_alu instid0(SALU_CYCLE_1)
	v_cmpx_gt_i32_e64 s8, v0
	s_cbranch_execz .LBB7_5
; %bb.2:
	v_dual_mov_b32 v4, 0 :: v_dual_lshlrev_b32 v1, 2, v0
	s_add_u32 s2, s4, s6
	s_addc_u32 s9, s5, s7
	v_mov_b32_e32 v3, v0
	s_delay_alu instid0(VALU_DEP_2) | instskip(NEXT) | instid1(VALU_DEP_1)
	v_add_co_u32 v1, s2, s2, v1
	v_add_co_ci_u32_e64 v2, null, s9, 0, s2
	s_mov_b32 s9, 0
	s_lshl_b32 s14, s12, 2
.LBB7_3:                                ; =>This Inner Loop Header: Depth=1
	global_load_b32 v5, v[1:2], off
	v_add_nc_u32_e32 v3, s12, v3
	v_add_co_u32 v1, vcc_lo, v1, s14
	v_add_co_ci_u32_e32 v2, vcc_lo, 0, v2, vcc_lo
	s_waitcnt vmcnt(0)
	v_fmac_f32_e32 v4, v5, v5
	v_cmp_le_i32_e64 s2, s8, v3
	s_delay_alu instid0(VALU_DEP_1) | instskip(NEXT) | instid1(SALU_CYCLE_1)
	s_or_b32 s9, s2, s9
	s_and_not1_b32 exec_lo, exec_lo, s9
	s_cbranch_execnz .LBB7_3
; %bb.4:
	s_or_b32 exec_lo, exec_lo, s9
.LBB7_5:
	s_delay_alu instid0(SALU_CYCLE_1)
	s_or_b32 exec_lo, exec_lo, s3
	s_sub_i32 s3, s13, s8
	s_ashr_i32 s9, s8, 31
	s_ashr_i32 s2, s3, 31
	s_mov_b32 s16, exec_lo
	s_lshr_b32 s2, s2, 30
	s_delay_alu instid0(SALU_CYCLE_1) | instskip(NEXT) | instid1(SALU_CYCLE_1)
	s_add_i32 s2, s3, s2
	s_ashr_i32 s14, s2, 2
	s_delay_alu instid0(SALU_CYCLE_1)
	v_cmpx_gt_i32_e64 s14, v0
	s_cbranch_execz .LBB7_9
; %bb.6:
	v_lshlrev_b32_e32 v1, 4, v0
	s_lshl_b64 s[18:19], s[8:9], 2
	s_add_u32 s2, s4, s6
	s_addc_u32 s17, s5, s7
	s_add_u32 s2, s2, s18
	s_addc_u32 s17, s17, s19
	v_add_co_u32 v1, s2, s2, v1
	s_delay_alu instid0(VALU_DEP_1) | instskip(SKIP_1) | instid1(VALU_DEP_3)
	v_add_co_ci_u32_e64 v2, null, s17, 0, s2
	v_mov_b32_e32 v3, v0
	v_add_co_u32 v1, vcc_lo, v1, 8
	s_delay_alu instid0(VALU_DEP_3)
	v_add_co_ci_u32_e32 v2, vcc_lo, 0, v2, vcc_lo
	s_mov_b32 s17, 0
	s_lshl_b32 s18, s12, 4
.LBB7_7:                                ; =>This Inner Loop Header: Depth=1
	global_load_b128 v[5:8], v[1:2], off offset:-8
	v_add_co_u32 v1, vcc_lo, v1, s18
	v_add_co_ci_u32_e32 v2, vcc_lo, 0, v2, vcc_lo
	v_add_nc_u32_e32 v3, s12, v3
	s_delay_alu instid0(VALU_DEP_1) | instskip(NEXT) | instid1(VALU_DEP_1)
	v_cmp_le_i32_e64 s2, s14, v3
	s_or_b32 s17, s2, s17
	s_waitcnt vmcnt(0)
	v_fmac_f32_e32 v4, v5, v5
	s_delay_alu instid0(VALU_DEP_1) | instskip(NEXT) | instid1(VALU_DEP_1)
	v_fmac_f32_e32 v4, v6, v6
	v_fmac_f32_e32 v4, v7, v7
	s_delay_alu instid0(VALU_DEP_1)
	v_fmac_f32_e32 v4, v8, v8
	s_and_not1_b32 exec_lo, exec_lo, s17
	s_cbranch_execnz .LBB7_7
; %bb.8:
	s_or_b32 exec_lo, exec_lo, s17
.LBB7_9:
	s_delay_alu instid0(SALU_CYCLE_1) | instskip(SKIP_2) | instid1(VALU_DEP_1)
	s_or_b32 exec_lo, exec_lo, s16
	v_lshl_add_u32 v1, s14, 2, v0
	s_mov_b32 s14, exec_lo
	v_cmpx_gt_i32_e64 s3, v1
	s_cbranch_execz .LBB7_13
; %bb.10:
	v_ashrrev_i32_e32 v2, 31, v1
	s_lshl_b64 s[8:9], s[8:9], 2
	s_add_u32 s2, s4, s6
	s_addc_u32 s16, s5, s7
	s_add_u32 s2, s2, s8
	v_lshlrev_b64 v[2:3], 2, v[1:2]
	s_addc_u32 s8, s16, s9
	s_lshl_b32 s9, s12, 2
	s_delay_alu instid0(VALU_DEP_1) | instskip(NEXT) | instid1(VALU_DEP_2)
	v_add_co_u32 v2, vcc_lo, s2, v2
	v_add_co_ci_u32_e32 v3, vcc_lo, s8, v3, vcc_lo
	s_mov_b32 s8, 0
.LBB7_11:                               ; =>This Inner Loop Header: Depth=1
	global_load_b32 v5, v[2:3], off
	v_add_nc_u32_e32 v1, s12, v1
	v_add_co_u32 v2, vcc_lo, v2, s9
	v_add_co_ci_u32_e32 v3, vcc_lo, 0, v3, vcc_lo
	s_delay_alu instid0(VALU_DEP_3) | instskip(NEXT) | instid1(VALU_DEP_1)
	v_cmp_le_i32_e64 s2, s3, v1
	s_or_b32 s8, s2, s8
	s_waitcnt vmcnt(0)
	v_fmac_f32_e32 v4, v5, v5
	s_and_not1_b32 exec_lo, exec_lo, s8
	s_cbranch_execnz .LBB7_11
; %bb.12:
	s_or_b32 exec_lo, exec_lo, s8
.LBB7_13:
	s_delay_alu instid0(SALU_CYCLE_1)
	s_or_b32 exec_lo, exec_lo, s14
	s_branch .LBB7_20
.LBB7_14:
                                        ; implicit-def: $vgpr4
	s_cbranch_execz .LBB7_20
; %bb.15:
	v_mov_b32_e32 v4, 0
	s_ashr_i32 s8, s13, 2
	s_mov_b32 s3, exec_lo
	v_cmpx_gt_i32_e64 s8, v0
	s_cbranch_execz .LBB7_19
; %bb.16:
	v_dual_mov_b32 v4, 0 :: v_dual_lshlrev_b32 v1, 4, v0
	s_add_u32 s2, s4, s6
	s_addc_u32 s4, s5, s7
	v_mov_b32_e32 v3, v0
	s_delay_alu instid0(VALU_DEP_2) | instskip(NEXT) | instid1(VALU_DEP_1)
	v_add_co_u32 v1, s2, s2, v1
	v_add_co_ci_u32_e64 v2, null, s4, 0, s2
	s_mov_b32 s4, 0
	s_delay_alu instid0(VALU_DEP_2) | instskip(NEXT) | instid1(VALU_DEP_2)
	v_add_co_u32 v1, vcc_lo, v1, 8
	v_add_co_ci_u32_e32 v2, vcc_lo, 0, v2, vcc_lo
	s_lshl_b32 s5, s12, 4
.LBB7_17:                               ; =>This Inner Loop Header: Depth=1
	global_load_b128 v[5:8], v[1:2], off offset:-8
	v_add_co_u32 v1, vcc_lo, v1, s5
	v_add_co_ci_u32_e32 v2, vcc_lo, 0, v2, vcc_lo
	v_add_nc_u32_e32 v3, s12, v3
	s_delay_alu instid0(VALU_DEP_1) | instskip(NEXT) | instid1(VALU_DEP_1)
	v_cmp_le_i32_e64 s2, s8, v3
	s_or_b32 s4, s2, s4
	s_waitcnt vmcnt(0)
	v_fmac_f32_e32 v4, v5, v5
	s_delay_alu instid0(VALU_DEP_1) | instskip(NEXT) | instid1(VALU_DEP_1)
	v_fmac_f32_e32 v4, v6, v6
	v_fmac_f32_e32 v4, v7, v7
	s_delay_alu instid0(VALU_DEP_1)
	v_fmac_f32_e32 v4, v8, v8
	s_and_not1_b32 exec_lo, exec_lo, s4
	s_cbranch_execnz .LBB7_17
; %bb.18:
	s_or_b32 exec_lo, exec_lo, s4
.LBB7_19:
	s_delay_alu instid0(SALU_CYCLE_1)
	s_or_b32 exec_lo, exec_lo, s3
.LBB7_20:
	v_mbcnt_lo_u32_b32 v1, -1, 0
	v_and_b32_e32 v3, 0x3e0, v0
	s_mov_b32 s2, exec_lo
	s_delay_alu instid0(VALU_DEP_2) | instskip(NEXT) | instid1(VALU_DEP_2)
	v_cmp_ne_u32_e32 vcc_lo, 31, v1
	v_sub_nc_u32_e64 v12, s12, v3 clamp
	v_add_nc_u32_e32 v3, 1, v1
	v_add_co_ci_u32_e32 v2, vcc_lo, 0, v1, vcc_lo
	v_cmp_gt_u32_e32 vcc_lo, 30, v1
	s_delay_alu instid0(VALU_DEP_2)
	v_lshlrev_b32_e32 v2, 2, v2
	v_cndmask_b32_e64 v6, 0, 1, vcc_lo
	v_cmp_lt_u32_e32 vcc_lo, v3, v12
	ds_bpermute_b32 v5, v2, v4
	s_waitcnt lgkmcnt(0)
	v_dual_add_f32 v7, v4, v5 :: v_dual_lshlrev_b32 v6, 1, v6
	s_delay_alu instid0(VALU_DEP_1) | instskip(NEXT) | instid1(VALU_DEP_2)
	v_cndmask_b32_e32 v7, v4, v7, vcc_lo
	v_add_lshl_u32 v5, v6, v1, 2
	v_cmp_gt_u32_e32 vcc_lo, 28, v1
	ds_bpermute_b32 v6, v5, v7
	v_cndmask_b32_e64 v4, 0, 1, vcc_lo
	s_delay_alu instid0(VALU_DEP_1) | instskip(SKIP_1) | instid1(VALU_DEP_1)
	v_lshlrev_b32_e32 v8, 2, v4
	v_add_nc_u32_e32 v4, 2, v1
	v_cmp_lt_u32_e32 vcc_lo, v4, v12
	s_waitcnt lgkmcnt(0)
	v_add_f32_e32 v9, v7, v6
	v_add_lshl_u32 v6, v8, v1, 2
	s_delay_alu instid0(VALU_DEP_2) | instskip(SKIP_2) | instid1(VALU_DEP_1)
	v_cndmask_b32_e32 v9, v7, v9, vcc_lo
	v_cmp_gt_u32_e32 vcc_lo, 24, v1
	v_cndmask_b32_e64 v7, 0, 1, vcc_lo
	v_lshlrev_b32_e32 v10, 3, v7
	ds_bpermute_b32 v8, v6, v9
	v_add_nc_u32_e32 v7, 4, v1
	s_delay_alu instid0(VALU_DEP_1) | instskip(SKIP_3) | instid1(VALU_DEP_2)
	v_cmp_lt_u32_e32 vcc_lo, v7, v12
	s_waitcnt lgkmcnt(0)
	v_add_f32_e32 v11, v9, v8
	v_add_lshl_u32 v8, v10, v1, 2
	v_cndmask_b32_e32 v11, v9, v11, vcc_lo
	v_cmp_gt_u32_e32 vcc_lo, 16, v1
	ds_bpermute_b32 v10, v8, v11
	v_cndmask_b32_e64 v9, 0, 1, vcc_lo
	s_delay_alu instid0(VALU_DEP_1) | instskip(SKIP_1) | instid1(VALU_DEP_1)
	v_lshlrev_b32_e32 v13, 4, v9
	v_add_nc_u32_e32 v9, 8, v1
	v_cmp_lt_u32_e32 vcc_lo, v9, v12
	s_waitcnt lgkmcnt(0)
	v_add_f32_e32 v14, v11, v10
	v_add_lshl_u32 v10, v13, v1, 2
	s_delay_alu instid0(VALU_DEP_2)
	v_cndmask_b32_e32 v13, v11, v14, vcc_lo
	v_add_nc_u32_e32 v11, 16, v1
	ds_bpermute_b32 v14, v10, v13
	v_cmp_lt_u32_e32 vcc_lo, v11, v12
	s_waitcnt lgkmcnt(0)
	v_add_f32_e32 v14, v13, v14
	s_delay_alu instid0(VALU_DEP_1)
	v_cndmask_b32_e32 v12, v13, v14, vcc_lo
	v_cmpx_eq_u32_e32 0, v1
	s_cbranch_execz .LBB7_22
; %bb.21:
	v_lshrrev_b32_e32 v13, 3, v0
	s_delay_alu instid0(VALU_DEP_1)
	v_and_b32_e32 v13, 0x7c, v13
	ds_store_b32 v13, v12
.LBB7_22:
	s_or_b32 exec_lo, exec_lo, s2
	s_delay_alu instid0(SALU_CYCLE_1)
	s_mov_b32 s2, exec_lo
	s_waitcnt lgkmcnt(0)
	s_barrier
	buffer_gl0_inv
	v_cmpx_gt_u32_e32 32, v0
	s_cbranch_execz .LBB7_24
; %bb.23:
	v_lshlrev_b32_e32 v1, 2, v1
	s_add_i32 s3, s12, 31
	s_delay_alu instid0(SALU_CYCLE_1) | instskip(NEXT) | instid1(SALU_CYCLE_1)
	s_lshr_b32 s3, s3, 5
	v_cmp_gt_u32_e32 vcc_lo, s3, v3
	ds_load_b32 v1, v1
	s_waitcnt lgkmcnt(0)
	ds_bpermute_b32 v2, v2, v1
	s_waitcnt lgkmcnt(0)
	v_add_f32_e32 v2, v1, v2
	s_delay_alu instid0(VALU_DEP_1) | instskip(SKIP_4) | instid1(VALU_DEP_1)
	v_cndmask_b32_e32 v1, v1, v2, vcc_lo
	v_cmp_gt_u32_e32 vcc_lo, s3, v4
	ds_bpermute_b32 v2, v5, v1
	s_waitcnt lgkmcnt(0)
	v_add_f32_e32 v2, v1, v2
	v_cndmask_b32_e32 v1, v1, v2, vcc_lo
	v_cmp_gt_u32_e32 vcc_lo, s3, v7
	ds_bpermute_b32 v2, v6, v1
	s_waitcnt lgkmcnt(0)
	v_add_f32_e32 v2, v1, v2
	s_delay_alu instid0(VALU_DEP_1) | instskip(SKIP_4) | instid1(VALU_DEP_1)
	v_cndmask_b32_e32 v1, v1, v2, vcc_lo
	v_cmp_gt_u32_e32 vcc_lo, s3, v9
	ds_bpermute_b32 v2, v8, v1
	s_waitcnt lgkmcnt(0)
	v_add_f32_e32 v2, v1, v2
	v_cndmask_b32_e32 v1, v1, v2, vcc_lo
	v_cmp_gt_u32_e32 vcc_lo, s3, v11
	ds_bpermute_b32 v2, v10, v1
	s_waitcnt lgkmcnt(0)
	v_add_f32_e32 v2, v1, v2
	s_delay_alu instid0(VALU_DEP_1)
	v_cndmask_b32_e32 v12, v1, v2, vcc_lo
.LBB7_24:
	s_or_b32 exec_lo, exec_lo, s2
	s_delay_alu instid0(SALU_CYCLE_1)
	s_mov_b32 s2, exec_lo
	v_cmpx_eq_u32_e32 0, v0
	s_cbranch_execz .LBB7_26
; %bb.25:
	v_cvt_f32_i32_e32 v1, s13
	s_load_b32 s3, s[0:1], 0x28
	s_delay_alu instid0(VALU_DEP_1) | instskip(SKIP_1) | instid1(VALU_DEP_2)
	v_div_scale_f32 v2, null, v1, v1, v12
	v_div_scale_f32 v5, vcc_lo, v12, v1, v12
	v_rcp_f32_e32 v3, v2
	s_waitcnt_depctr 0xfff
	v_fma_f32 v4, -v2, v3, 1.0
	s_delay_alu instid0(VALU_DEP_1) | instskip(NEXT) | instid1(VALU_DEP_1)
	v_fmac_f32_e32 v3, v4, v3
	v_mul_f32_e32 v4, v5, v3
	s_delay_alu instid0(VALU_DEP_1) | instskip(NEXT) | instid1(VALU_DEP_1)
	v_fma_f32 v6, -v2, v4, v5
	v_fmac_f32_e32 v4, v6, v3
	s_delay_alu instid0(VALU_DEP_1) | instskip(NEXT) | instid1(VALU_DEP_1)
	v_fma_f32 v2, -v2, v4, v5
	v_div_fmas_f32 v2, v2, v3, v4
	s_delay_alu instid0(VALU_DEP_1) | instskip(SKIP_1) | instid1(VALU_DEP_1)
	v_div_fixup_f32 v1, v2, v1, v12
	s_waitcnt lgkmcnt(0)
	v_add_f32_e32 v1, s3, v1
	s_delay_alu instid0(VALU_DEP_1) | instskip(SKIP_1) | instid1(VALU_DEP_2)
	v_mul_f32_e32 v2, 0x4b800000, v1
	v_cmp_gt_f32_e32 vcc_lo, 0x800000, v1
	v_cndmask_b32_e32 v1, v1, v2, vcc_lo
	s_delay_alu instid0(VALU_DEP_1) | instskip(SKIP_2) | instid1(VALU_DEP_1)
	v_rsq_f32_e32 v1, v1
	s_waitcnt_depctr 0xfff
	v_mul_f32_e32 v2, 0x45800000, v1
	v_dual_cndmask_b32 v1, v1, v2 :: v_dual_mov_b32 v2, 0
	ds_store_b32 v2, v1 offset:128
.LBB7_26:
	s_or_b32 exec_lo, exec_lo, s2
	s_ashr_i32 s2, s13, 31
	s_waitcnt lgkmcnt(0)
	s_lshr_b32 s2, s2, 30
	s_barrier
	s_add_i32 s2, s13, s2
	buffer_gl0_inv
	s_ashr_i32 s8, s2, 2
	s_mov_b32 s2, exec_lo
	v_cmpx_gt_i32_e64 s8, v0
	s_cbranch_execz .LBB7_69
; %bb.27:
	s_clause 0x1
	s_load_b128 s[4:7], s[0:1], 0x18
	s_load_b64 s[2:3], s[0:1], 0x0
	s_mul_i32 s15, s15, s13
	s_lshl_b32 s9, s12, 4
	v_lshl_add_u32 v16, v0, 2, s15
	s_mov_b32 s13, 0x43600000
	v_dual_mov_b32 v10, 0 :: v_dual_lshlrev_b32 v9, 4, v0
	ds_load_b32 v15, v10 offset:128
	v_dual_mov_b32 v12, v10 :: v_dual_mov_b32 v11, v9
	s_waitcnt lgkmcnt(0)
	s_load_b32 s7, s[6:7], 0x0
	s_lshl_b32 s6, s12, 2
	s_waitcnt lgkmcnt(0)
	v_div_scale_f32 v1, null, s7, s7, 1.0
	v_div_scale_f32 v4, vcc_lo, 1.0, s7, 1.0
	s_delay_alu instid0(VALU_DEP_2) | instskip(SKIP_2) | instid1(VALU_DEP_1)
	v_rcp_f32_e32 v2, v1
	s_waitcnt_depctr 0xfff
	v_fma_f32 v3, -v1, v2, 1.0
	v_fmac_f32_e32 v2, v3, v2
	s_delay_alu instid0(VALU_DEP_1) | instskip(NEXT) | instid1(VALU_DEP_1)
	v_mul_f32_e32 v3, v4, v2
	v_fma_f32 v5, -v1, v3, v4
	s_delay_alu instid0(VALU_DEP_1) | instskip(NEXT) | instid1(VALU_DEP_1)
	v_fmac_f32_e32 v3, v5, v2
	v_fma_f32 v1, -v1, v3, v4
	s_delay_alu instid0(VALU_DEP_1) | instskip(NEXT) | instid1(VALU_DEP_1)
	v_div_fmas_f32 v1, v1, v2, v3
	v_div_fixup_f32 v17, v1, s7, 1.0
	s_mov_b32 s7, 0
	s_branch .LBB7_32
.LBB7_28:                               ;   in Loop: Header=BB7_32 Depth=1
	s_or_b32 exec_lo, exec_lo, s0
	s_delay_alu instid0(VALU_DEP_2) | instskip(NEXT) | instid1(VALU_DEP_2)
	v_lshrrev_b64 v[1:2], 20, v[1:2]
	v_cmp_gt_i32_e32 vcc_lo, 16, v4
	v_and_b32_e32 v3, 0x80, v3
	v_min_i32_e32 v5, 15, v4
	v_cmp_eq_u32_e64 s0, 0, v4
	v_dual_cndmask_b32 v2, 0, v2 :: v_dual_cndmask_b32 v1, 7, v1
	s_delay_alu instid0(VALU_DEP_3) | instskip(NEXT) | instid1(VALU_DEP_2)
	v_lshl_or_b32 v3, v5, 3, v3
	v_cmp_eq_u64_e32 vcc_lo, 0, v[1:2]
	s_delay_alu instid0(VALU_DEP_2)
	v_and_or_b32 v1, v1, 7, v3
	s_and_b32 s0, s0, vcc_lo
	s_delay_alu instid0(VALU_DEP_1) | instid1(SALU_CYCLE_1)
	v_cndmask_b32_e64 v1, v1, 0, s0
.LBB7_29:                               ;   in Loop: Header=BB7_32 Depth=1
	s_or_b32 exec_lo, exec_lo, s16
.LBB7_30:                               ;   in Loop: Header=BB7_32 Depth=1
	s_and_not1_saveexec_b32 s0, s15
	s_delay_alu instid0(SALU_CYCLE_1)
	s_or_b32 exec_lo, exec_lo, s0
.LBB7_31:                               ;   in Loop: Header=BB7_32 Depth=1
	s_and_not1_saveexec_b32 s0, s14
	s_delay_alu instid0(SALU_CYCLE_1) | instskip(SKIP_4) | instid1(VALU_DEP_4)
	s_or_b32 exec_lo, exec_lo, s0
	v_add_nc_u32_e32 v0, s12, v0
	v_add_co_u32 v11, s0, v11, s9
	v_add_nc_u32_e32 v2, 3, v16
	v_add_nc_u32_e32 v16, s6, v16
	v_cmp_le_i32_e32 vcc_lo, s8, v0
	v_add_co_ci_u32_e64 v12, s0, 0, v12, s0
	global_store_b8 v2, v1, s[2:3]
	s_or_b32 s7, vcc_lo, s7
	s_delay_alu instid0(SALU_CYCLE_1)
	s_and_not1_b32 exec_lo, exec_lo, s7
	s_cbranch_execz .LBB7_69
.LBB7_32:                               ; =>This Inner Loop Header: Depth=1
	v_add_co_u32 v1, vcc_lo, s10, v11
	v_add_co_ci_u32_e32 v2, vcc_lo, s11, v12, vcc_lo
	v_add_co_u32 v5, vcc_lo, s4, v11
	v_add_co_ci_u32_e32 v6, vcc_lo, s5, v12, vcc_lo
	global_load_b128 v[1:4], v[1:2], off
	s_mov_b32 s0, exec_lo
	global_load_b128 v[5:8], v[5:6], off
	s_waitcnt vmcnt(1)
	v_mul_f32_e32 v1, v1, v15
	s_waitcnt vmcnt(0)
	s_delay_alu instid0(VALU_DEP_1) | instskip(NEXT) | instid1(VALU_DEP_1)
	v_mul_f32_e32 v1, v1, v5
	v_mul_f32_e32 v1, v17, v1
	s_delay_alu instid0(VALU_DEP_1) | instskip(NEXT) | instid1(VALU_DEP_1)
	v_minmax_f32 v5, v1, s13, 0xc3600000
	v_lshrrev_b32_e32 v1, 24, v5
	v_and_b32_e32 v9, 0x7f800000, v5
	s_delay_alu instid0(VALU_DEP_2) | instskip(NEXT) | instid1(VALU_DEP_2)
	v_or_b32_e32 v13, 0x7f, v1
	v_cmpx_ne_u64_e32 0x7f800000, v[9:10]
	s_xor_b32 s14, exec_lo, s0
	s_cbranch_execz .LBB7_42
; %bb.33:                               ;   in Loop: Header=BB7_32 Depth=1
	v_and_b32_e32 v9, 0x7fffffff, v5
	s_mov_b32 s0, exec_lo
	s_delay_alu instid0(VALU_DEP_1)
	v_cmpx_gt_u64_e32 0x43700001, v[9:10]
	s_xor_b32 s15, exec_lo, s0
	s_cbranch_execz .LBB7_41
; %bb.34:                               ;   in Loop: Header=BB7_32 Depth=1
	v_mov_b32_e32 v13, 0
	s_mov_b32 s16, exec_lo
	v_cmpx_ne_u32_e32 0, v5
	s_cbranch_execz .LBB7_40
; %bb.35:                               ;   in Loop: Header=BB7_32 Depth=1
	v_bfe_u32 v22, v5, 23, 8
	v_and_b32_e32 v5, 0x7fffff, v5
	s_delay_alu instid0(VALU_DEP_2) | instskip(SKIP_1) | instid1(VALU_DEP_2)
	v_sub_nc_u32_e64 v9, 0x78, v22 clamp
	v_cmp_eq_u32_e32 vcc_lo, 0, v22
	v_cndmask_b32_e64 v23, v9, 0x77, vcc_lo
	s_delay_alu instid0(VALU_DEP_1) | instskip(NEXT) | instid1(VALU_DEP_1)
	v_add_nc_u32_e32 v13, 20, v23
	v_lshlrev_b64 v[13:14], v13, -1
	v_mov_b32_e32 v14, v10
	v_or_b32_e32 v9, 0x800000, v5
	s_delay_alu instid0(VALU_DEP_3) | instskip(NEXT) | instid1(VALU_DEP_2)
	v_not_b32_e32 v13, v13
	v_cndmask_b32_e32 v9, v9, v5, vcc_lo
	v_add_nc_u32_e32 v5, 19, v23
	s_delay_alu instid0(VALU_DEP_2) | instskip(NEXT) | instid1(VALU_DEP_2)
	v_lshrrev_b64 v[20:21], v23, v[9:10]
	v_lshlrev_b64 v[18:19], v5, 1
	v_and_b32_e32 v13, v9, v13
	v_add_nc_u32_e32 v5, 0xffffff89, v22
	s_delay_alu instid0(VALU_DEP_4) | instskip(NEXT) | instid1(VALU_DEP_3)
	v_and_b32_e32 v9, 0x100000, v20
	v_cmp_eq_u64_e64 s0, v[13:14], v[18:19]
	s_delay_alu instid0(VALU_DEP_3) | instskip(NEXT) | instid1(VALU_DEP_3)
	v_cndmask_b32_e64 v5, v5, 0xffffff8a, vcc_lo
	v_cmp_eq_u64_e64 s1, 0, v[9:10]
	v_lshrrev_b32_e32 v9, 23, v20
	s_delay_alu instid0(VALU_DEP_1) | instskip(NEXT) | instid1(VALU_DEP_3)
	v_add3_u32 v18, v5, v23, v9
	s_and_b32 vcc_lo, s1, s0
	s_mov_b32 s0, exec_lo
	v_subrev_co_ci_u32_e32 v13, vcc_lo, 0, v20, vcc_lo
	s_delay_alu instid0(VALU_DEP_2) | instskip(NEXT) | instid1(VALU_DEP_2)
	v_add_nc_u32_e32 v19, -1, v18
	v_and_b32_e32 v5, 0xfffff, v13
	s_delay_alu instid0(VALU_DEP_1) | instskip(SKIP_1) | instid1(VALU_DEP_4)
	v_add_co_u32 v13, vcc_lo, v5, v20
	v_add_co_ci_u32_e32 v14, vcc_lo, 0, v21, vcc_lo
                                        ; implicit-def: $vgpr5
	v_cmpx_ne_u32_e32 0, v19
	s_xor_b32 s0, exec_lo, s0
; %bb.36:                               ;   in Loop: Header=BB7_32 Depth=1
	s_delay_alu instid0(VALU_DEP_3) | instskip(SKIP_1) | instid1(VALU_DEP_2)
	v_and_b32_e32 v9, 0x1000000, v13
	v_bfe_u32 v5, v13, 24, 1
	v_cmp_eq_u64_e32 vcc_lo, 0, v[9:10]
	s_delay_alu instid0(VALU_DEP_2)
	v_lshrrev_b64 v[13:14], v5, v[13:14]
	v_cndmask_b32_e32 v5, v18, v19, vcc_lo
; %bb.37:                               ;   in Loop: Header=BB7_32 Depth=1
	s_and_not1_saveexec_b32 s0, s0
; %bb.38:                               ;   in Loop: Header=BB7_32 Depth=1
	s_delay_alu instid0(VALU_DEP_2)
	v_bfe_u32 v5, v13, 23, 1
; %bb.39:                               ;   in Loop: Header=BB7_32 Depth=1
	s_or_b32 exec_lo, exec_lo, s0
	s_delay_alu instid0(VALU_DEP_3) | instskip(NEXT) | instid1(VALU_DEP_2)
	v_lshrrev_b64 v[13:14], 20, v[13:14]
	v_cmp_gt_i32_e32 vcc_lo, 16, v5
	v_and_b32_e32 v1, 0x80, v1
	v_min_i32_e32 v9, 15, v5
	v_cmp_eq_u32_e64 s0, 0, v5
	v_dual_cndmask_b32 v14, 0, v14 :: v_dual_cndmask_b32 v13, 7, v13
	s_delay_alu instid0(VALU_DEP_3) | instskip(NEXT) | instid1(VALU_DEP_2)
	v_lshl_or_b32 v1, v9, 3, v1
	v_cmp_eq_u64_e32 vcc_lo, 0, v[13:14]
	s_delay_alu instid0(VALU_DEP_2)
	v_and_or_b32 v1, v13, 7, v1
	s_and_b32 s0, s0, vcc_lo
	s_delay_alu instid0(VALU_DEP_1) | instid1(SALU_CYCLE_1)
	v_cndmask_b32_e64 v13, v1, 0, s0
.LBB7_40:                               ;   in Loop: Header=BB7_32 Depth=1
	s_or_b32 exec_lo, exec_lo, s16
.LBB7_41:                               ;   in Loop: Header=BB7_32 Depth=1
	s_and_not1_saveexec_b32 s0, s15
	s_delay_alu instid0(SALU_CYCLE_1)
	s_or_b32 exec_lo, exec_lo, s0
.LBB7_42:                               ;   in Loop: Header=BB7_32 Depth=1
	s_and_not1_saveexec_b32 s0, s14
	s_delay_alu instid0(SALU_CYCLE_1) | instskip(SKIP_4) | instid1(VALU_DEP_1)
	s_or_b32 exec_lo, exec_lo, s0
	v_mul_f32_e32 v1, v2, v15
	global_store_b8 v16, v13, s[2:3]
	s_mov_b32 s0, exec_lo
	v_mul_f32_e32 v1, v1, v6
	v_mul_f32_e32 v1, v17, v1
	s_delay_alu instid0(VALU_DEP_1) | instskip(NEXT) | instid1(VALU_DEP_1)
	v_minmax_f32 v2, v1, s13, 0xc3600000
	v_lshrrev_b32_e32 v5, 24, v2
	v_and_b32_e32 v9, 0x7f800000, v2
	s_delay_alu instid0(VALU_DEP_2) | instskip(NEXT) | instid1(VALU_DEP_2)
	v_or_b32_e32 v1, 0x7f, v5
	v_cmpx_ne_u64_e32 0x7f800000, v[9:10]
	s_xor_b32 s14, exec_lo, s0
	s_cbranch_execz .LBB7_52
; %bb.43:                               ;   in Loop: Header=BB7_32 Depth=1
	v_and_b32_e32 v9, 0x7fffffff, v2
	s_mov_b32 s0, exec_lo
	s_delay_alu instid0(VALU_DEP_1)
	v_cmpx_gt_u64_e32 0x43700001, v[9:10]
	s_xor_b32 s15, exec_lo, s0
	s_cbranch_execz .LBB7_51
; %bb.44:                               ;   in Loop: Header=BB7_32 Depth=1
	v_mov_b32_e32 v1, 0
	s_mov_b32 s16, exec_lo
	v_cmpx_ne_u32_e32 0, v2
	s_cbranch_execz .LBB7_50
; %bb.45:                               ;   in Loop: Header=BB7_32 Depth=1
	v_bfe_u32 v6, v2, 23, 8
	v_and_b32_e32 v2, 0x7fffff, v2
	s_delay_alu instid0(VALU_DEP_2) | instskip(SKIP_2) | instid1(VALU_DEP_3)
	v_sub_nc_u32_e64 v1, 0x78, v6 clamp
	v_cmp_eq_u32_e32 vcc_lo, 0, v6
	v_add_nc_u32_e32 v6, 0xffffff89, v6
	v_cndmask_b32_e64 v20, v1, 0x77, vcc_lo
	v_or_b32_e32 v1, 0x800000, v2
	s_delay_alu instid0(VALU_DEP_2) | instskip(NEXT) | instid1(VALU_DEP_2)
	v_add_nc_u32_e32 v13, 20, v20
	v_cndmask_b32_e32 v9, v1, v2, vcc_lo
	s_delay_alu instid0(VALU_DEP_2) | instskip(SKIP_1) | instid1(VALU_DEP_3)
	v_lshlrev_b64 v[1:2], v13, -1
	v_add_nc_u32_e32 v13, 19, v20
	v_lshrrev_b64 v[18:19], v20, v[9:10]
	v_mov_b32_e32 v2, v10
	s_delay_alu instid0(VALU_DEP_3) | instskip(SKIP_1) | instid1(VALU_DEP_1)
	v_lshlrev_b64 v[13:14], v13, 1
	v_not_b32_e32 v1, v1
	v_and_b32_e32 v1, v9, v1
	v_and_b32_e32 v9, 0x100000, v18
	s_delay_alu instid0(VALU_DEP_2) | instskip(NEXT) | instid1(VALU_DEP_2)
	v_cmp_eq_u64_e64 s0, v[1:2], v[13:14]
	v_cmp_eq_u64_e64 s1, 0, v[9:10]
	v_cndmask_b32_e64 v1, v6, 0xffffff8a, vcc_lo
	v_lshrrev_b32_e32 v2, 23, v18
	s_delay_alu instid0(VALU_DEP_3) | instskip(NEXT) | instid1(VALU_DEP_1)
	s_and_b32 vcc_lo, s1, s0
	v_add3_u32 v13, v1, v20, v2
	v_subrev_co_ci_u32_e32 v6, vcc_lo, 0, v18, vcc_lo
	s_mov_b32 s0, exec_lo
	s_delay_alu instid0(VALU_DEP_2) | instskip(NEXT) | instid1(VALU_DEP_2)
	v_add_nc_u32_e32 v14, -1, v13
	v_and_b32_e32 v1, 0xfffff, v6
                                        ; implicit-def: $vgpr6
	s_delay_alu instid0(VALU_DEP_1) | instskip(SKIP_1) | instid1(VALU_DEP_4)
	v_add_co_u32 v1, vcc_lo, v1, v18
	v_add_co_ci_u32_e32 v2, vcc_lo, 0, v19, vcc_lo
	v_cmpx_ne_u32_e32 0, v14
	s_xor_b32 s0, exec_lo, s0
; %bb.46:                               ;   in Loop: Header=BB7_32 Depth=1
	s_delay_alu instid0(VALU_DEP_3) | instskip(SKIP_1) | instid1(VALU_DEP_2)
	v_and_b32_e32 v9, 0x1000000, v1
	v_bfe_u32 v6, v1, 24, 1
	v_cmp_eq_u64_e32 vcc_lo, 0, v[9:10]
	s_delay_alu instid0(VALU_DEP_2)
	v_lshrrev_b64 v[1:2], v6, v[1:2]
	v_cndmask_b32_e32 v6, v13, v14, vcc_lo
; %bb.47:                               ;   in Loop: Header=BB7_32 Depth=1
	s_and_not1_saveexec_b32 s0, s0
; %bb.48:                               ;   in Loop: Header=BB7_32 Depth=1
	s_delay_alu instid0(VALU_DEP_2)
	v_bfe_u32 v6, v1, 23, 1
; %bb.49:                               ;   in Loop: Header=BB7_32 Depth=1
	s_or_b32 exec_lo, exec_lo, s0
	s_delay_alu instid0(VALU_DEP_3) | instskip(NEXT) | instid1(VALU_DEP_2)
	v_lshrrev_b64 v[1:2], 20, v[1:2]
	v_cmp_gt_i32_e32 vcc_lo, 16, v6
	v_and_b32_e32 v5, 0x80, v5
	v_min_i32_e32 v9, 15, v6
	v_cmp_eq_u32_e64 s0, 0, v6
	v_dual_cndmask_b32 v2, 0, v2 :: v_dual_cndmask_b32 v1, 7, v1
	s_delay_alu instid0(VALU_DEP_3) | instskip(NEXT) | instid1(VALU_DEP_2)
	v_lshl_or_b32 v5, v9, 3, v5
	v_cmp_eq_u64_e32 vcc_lo, 0, v[1:2]
	s_delay_alu instid0(VALU_DEP_2)
	v_and_or_b32 v1, v1, 7, v5
	s_and_b32 s0, s0, vcc_lo
	s_delay_alu instid0(VALU_DEP_1) | instid1(SALU_CYCLE_1)
	v_cndmask_b32_e64 v1, v1, 0, s0
.LBB7_50:                               ;   in Loop: Header=BB7_32 Depth=1
	s_or_b32 exec_lo, exec_lo, s16
.LBB7_51:                               ;   in Loop: Header=BB7_32 Depth=1
	s_and_not1_saveexec_b32 s0, s15
	s_delay_alu instid0(SALU_CYCLE_1)
	s_or_b32 exec_lo, exec_lo, s0
.LBB7_52:                               ;   in Loop: Header=BB7_32 Depth=1
	s_and_not1_saveexec_b32 s0, s14
	s_delay_alu instid0(SALU_CYCLE_1) | instskip(SKIP_3) | instid1(VALU_DEP_2)
	s_or_b32 exec_lo, exec_lo, s0
	v_mul_f32_e32 v2, v3, v15
	v_add_nc_u32_e32 v6, 1, v16
	s_mov_b32 s0, exec_lo
	v_mul_f32_e32 v2, v2, v7
	global_store_b8 v6, v1, s[2:3]
	v_mul_f32_e32 v2, v17, v2
	s_delay_alu instid0(VALU_DEP_1) | instskip(NEXT) | instid1(VALU_DEP_1)
	v_minmax_f32 v5, v2, s13, 0xc3600000
	v_and_b32_e32 v9, 0x7f800000, v5
	v_lshrrev_b32_e32 v3, 24, v5
	s_delay_alu instid0(VALU_DEP_1) | instskip(NEXT) | instid1(VALU_DEP_3)
	v_or_b32_e32 v2, 0x7f, v3
	v_cmpx_ne_u64_e32 0x7f800000, v[9:10]
	s_xor_b32 s14, exec_lo, s0
	s_cbranch_execz .LBB7_62
; %bb.53:                               ;   in Loop: Header=BB7_32 Depth=1
	v_and_b32_e32 v9, 0x7fffffff, v5
	s_mov_b32 s0, exec_lo
	s_delay_alu instid0(VALU_DEP_1)
	v_cmpx_gt_u64_e32 0x43700001, v[9:10]
	s_xor_b32 s15, exec_lo, s0
	s_cbranch_execz .LBB7_61
; %bb.54:                               ;   in Loop: Header=BB7_32 Depth=1
	v_mov_b32_e32 v2, 0
	s_mov_b32 s16, exec_lo
	v_cmpx_ne_u32_e32 0, v5
	s_cbranch_execz .LBB7_60
; %bb.55:                               ;   in Loop: Header=BB7_32 Depth=1
	v_bfe_u32 v7, v5, 23, 8
	v_and_b32_e32 v2, 0x7fffff, v5
	s_delay_alu instid0(VALU_DEP_2) | instskip(SKIP_2) | instid1(VALU_DEP_3)
	v_sub_nc_u32_e64 v1, 0x78, v7 clamp
	v_cmp_eq_u32_e32 vcc_lo, 0, v7
	v_add_nc_u32_e32 v7, 0xffffff89, v7
	v_cndmask_b32_e64 v18, v1, 0x77, vcc_lo
	v_or_b32_e32 v1, 0x800000, v2
	s_delay_alu instid0(VALU_DEP_2) | instskip(NEXT) | instid1(VALU_DEP_2)
	v_add_nc_u32_e32 v5, 20, v18
	v_cndmask_b32_e32 v9, v1, v2, vcc_lo
	s_delay_alu instid0(VALU_DEP_2) | instskip(SKIP_1) | instid1(VALU_DEP_3)
	v_lshlrev_b64 v[1:2], v5, -1
	v_dual_mov_b32 v2, v10 :: v_dual_add_nc_u32 v5, 19, v18
	v_lshrrev_b64 v[13:14], v18, v[9:10]
	s_delay_alu instid0(VALU_DEP_3) | instskip(NEXT) | instid1(VALU_DEP_3)
	v_not_b32_e32 v1, v1
	v_lshlrev_b64 v[5:6], v5, 1
	s_delay_alu instid0(VALU_DEP_2) | instskip(NEXT) | instid1(VALU_DEP_4)
	v_and_b32_e32 v1, v9, v1
	v_and_b32_e32 v9, 0x100000, v13
	s_delay_alu instid0(VALU_DEP_2) | instskip(NEXT) | instid1(VALU_DEP_2)
	v_cmp_eq_u64_e64 s0, v[1:2], v[5:6]
	v_cmp_eq_u64_e64 s1, 0, v[9:10]
	v_cndmask_b32_e64 v1, v7, 0xffffff8a, vcc_lo
	v_lshrrev_b32_e32 v2, 23, v13
	s_delay_alu instid0(VALU_DEP_3) | instskip(NEXT) | instid1(VALU_DEP_1)
	s_and_b32 vcc_lo, s1, s0
	v_add3_u32 v6, v1, v18, v2
	v_subrev_co_ci_u32_e32 v5, vcc_lo, 0, v13, vcc_lo
	s_mov_b32 s0, exec_lo
	s_delay_alu instid0(VALU_DEP_2) | instskip(NEXT) | instid1(VALU_DEP_2)
	v_add_nc_u32_e32 v7, -1, v6
	v_and_b32_e32 v1, 0xfffff, v5
                                        ; implicit-def: $vgpr5
	s_delay_alu instid0(VALU_DEP_1) | instskip(SKIP_1) | instid1(VALU_DEP_4)
	v_add_co_u32 v1, vcc_lo, v1, v13
	v_add_co_ci_u32_e32 v2, vcc_lo, 0, v14, vcc_lo
	v_cmpx_ne_u32_e32 0, v7
	s_xor_b32 s0, exec_lo, s0
; %bb.56:                               ;   in Loop: Header=BB7_32 Depth=1
	s_delay_alu instid0(VALU_DEP_3) | instskip(SKIP_1) | instid1(VALU_DEP_2)
	v_and_b32_e32 v9, 0x1000000, v1
	v_bfe_u32 v5, v1, 24, 1
	v_cmp_eq_u64_e32 vcc_lo, 0, v[9:10]
	s_delay_alu instid0(VALU_DEP_2)
	v_lshrrev_b64 v[1:2], v5, v[1:2]
	v_cndmask_b32_e32 v5, v6, v7, vcc_lo
; %bb.57:                               ;   in Loop: Header=BB7_32 Depth=1
	s_and_not1_saveexec_b32 s0, s0
; %bb.58:                               ;   in Loop: Header=BB7_32 Depth=1
	s_delay_alu instid0(VALU_DEP_2)
	v_bfe_u32 v5, v1, 23, 1
; %bb.59:                               ;   in Loop: Header=BB7_32 Depth=1
	s_or_b32 exec_lo, exec_lo, s0
	s_delay_alu instid0(VALU_DEP_3) | instskip(NEXT) | instid1(VALU_DEP_2)
	v_lshrrev_b64 v[1:2], 20, v[1:2]
	v_cmp_gt_i32_e32 vcc_lo, 16, v5
	v_and_b32_e32 v3, 0x80, v3
	v_min_i32_e32 v6, 15, v5
	v_cmp_eq_u32_e64 s0, 0, v5
	v_dual_cndmask_b32 v2, 0, v2 :: v_dual_cndmask_b32 v1, 7, v1
	s_delay_alu instid0(VALU_DEP_3) | instskip(NEXT) | instid1(VALU_DEP_2)
	v_lshl_or_b32 v3, v6, 3, v3
	v_cmp_eq_u64_e32 vcc_lo, 0, v[1:2]
	s_delay_alu instid0(VALU_DEP_2)
	v_and_or_b32 v1, v1, 7, v3
	s_and_b32 s0, s0, vcc_lo
	s_delay_alu instid0(VALU_DEP_1) | instid1(SALU_CYCLE_1)
	v_cndmask_b32_e64 v2, v1, 0, s0
.LBB7_60:                               ;   in Loop: Header=BB7_32 Depth=1
	s_or_b32 exec_lo, exec_lo, s16
.LBB7_61:                               ;   in Loop: Header=BB7_32 Depth=1
	s_and_not1_saveexec_b32 s0, s15
	s_delay_alu instid0(SALU_CYCLE_1)
	s_or_b32 exec_lo, exec_lo, s0
.LBB7_62:                               ;   in Loop: Header=BB7_32 Depth=1
	s_and_not1_saveexec_b32 s0, s14
	s_delay_alu instid0(SALU_CYCLE_1) | instskip(SKIP_3) | instid1(VALU_DEP_2)
	s_or_b32 exec_lo, exec_lo, s0
	v_mul_f32_e32 v1, v4, v15
	v_add_nc_u32_e32 v5, 2, v16
	s_mov_b32 s0, exec_lo
	v_mul_f32_e32 v1, v1, v8
	global_store_b8 v5, v2, s[2:3]
	v_mul_f32_e32 v1, v17, v1
	s_delay_alu instid0(VALU_DEP_1) | instskip(NEXT) | instid1(VALU_DEP_1)
	v_minmax_f32 v4, v1, s13, 0xc3600000
	v_lshrrev_b32_e32 v3, 24, v4
	v_and_b32_e32 v9, 0x7f800000, v4
	s_delay_alu instid0(VALU_DEP_2) | instskip(NEXT) | instid1(VALU_DEP_2)
	v_or_b32_e32 v1, 0x7f, v3
	v_cmpx_ne_u64_e32 0x7f800000, v[9:10]
	s_xor_b32 s14, exec_lo, s0
	s_cbranch_execz .LBB7_31
; %bb.63:                               ;   in Loop: Header=BB7_32 Depth=1
	v_and_b32_e32 v9, 0x7fffffff, v4
	s_mov_b32 s0, exec_lo
	s_delay_alu instid0(VALU_DEP_1)
	v_cmpx_gt_u64_e32 0x43700001, v[9:10]
	s_xor_b32 s15, exec_lo, s0
	s_cbranch_execz .LBB7_30
; %bb.64:                               ;   in Loop: Header=BB7_32 Depth=1
	v_mov_b32_e32 v1, 0
	s_mov_b32 s16, exec_lo
	v_cmpx_ne_u32_e32 0, v4
	s_cbranch_execz .LBB7_29
; %bb.65:                               ;   in Loop: Header=BB7_32 Depth=1
	v_bfe_u32 v6, v4, 23, 8
	v_and_b32_e32 v2, 0x7fffff, v4
	s_delay_alu instid0(VALU_DEP_2) | instskip(SKIP_2) | instid1(VALU_DEP_3)
	v_sub_nc_u32_e64 v1, 0x78, v6 clamp
	v_cmp_eq_u32_e32 vcc_lo, 0, v6
	v_add_nc_u32_e32 v6, 0xffffff89, v6
	v_cndmask_b32_e64 v13, v1, 0x77, vcc_lo
	v_or_b32_e32 v1, 0x800000, v2
	s_delay_alu instid0(VALU_DEP_1) | instskip(NEXT) | instid1(VALU_DEP_1)
	v_dual_cndmask_b32 v9, v1, v2 :: v_dual_add_nc_u32 v4, 20, v13
	v_lshlrev_b64 v[1:2], v4, -1
	v_add_nc_u32_e32 v4, 19, v13
	s_delay_alu instid0(VALU_DEP_3) | instskip(NEXT) | instid1(VALU_DEP_2)
	v_lshrrev_b64 v[7:8], v13, v[9:10]
	v_lshlrev_b64 v[4:5], v4, 1
	s_delay_alu instid0(VALU_DEP_4) | instskip(NEXT) | instid1(VALU_DEP_1)
	v_not_b32_e32 v1, v1
	v_dual_mov_b32 v2, v10 :: v_dual_and_b32 v1, v9, v1
	s_delay_alu instid0(VALU_DEP_4) | instskip(NEXT) | instid1(VALU_DEP_2)
	v_and_b32_e32 v9, 0x100000, v7
	v_cmp_eq_u64_e64 s0, v[1:2], v[4:5]
	s_delay_alu instid0(VALU_DEP_2) | instskip(SKIP_2) | instid1(VALU_DEP_3)
	v_cmp_eq_u64_e64 s1, 0, v[9:10]
	v_cndmask_b32_e64 v1, v6, 0xffffff8a, vcc_lo
	v_lshrrev_b32_e32 v2, 23, v7
	s_and_b32 vcc_lo, s1, s0
	s_delay_alu instid0(VALU_DEP_1) | instskip(SKIP_2) | instid1(VALU_DEP_2)
	v_add3_u32 v5, v1, v13, v2
	v_subrev_co_ci_u32_e32 v4, vcc_lo, 0, v7, vcc_lo
	s_mov_b32 s0, exec_lo
	v_add_nc_u32_e32 v6, -1, v5
	s_delay_alu instid0(VALU_DEP_2) | instskip(NEXT) | instid1(VALU_DEP_1)
	v_and_b32_e32 v1, 0xfffff, v4
                                        ; implicit-def: $vgpr4
	v_add_co_u32 v1, vcc_lo, v1, v7
	v_add_co_ci_u32_e32 v2, vcc_lo, 0, v8, vcc_lo
	s_delay_alu instid0(VALU_DEP_4)
	v_cmpx_ne_u32_e32 0, v6
	s_xor_b32 s0, exec_lo, s0
; %bb.66:                               ;   in Loop: Header=BB7_32 Depth=1
	s_delay_alu instid0(VALU_DEP_3) | instskip(SKIP_1) | instid1(VALU_DEP_2)
	v_and_b32_e32 v9, 0x1000000, v1
	v_bfe_u32 v4, v1, 24, 1
	v_cmp_eq_u64_e32 vcc_lo, 0, v[9:10]
	s_delay_alu instid0(VALU_DEP_2)
	v_lshrrev_b64 v[1:2], v4, v[1:2]
	v_cndmask_b32_e32 v4, v5, v6, vcc_lo
; %bb.67:                               ;   in Loop: Header=BB7_32 Depth=1
	s_and_not1_saveexec_b32 s0, s0
	s_cbranch_execz .LBB7_28
; %bb.68:                               ;   in Loop: Header=BB7_32 Depth=1
	s_delay_alu instid0(VALU_DEP_2)
	v_bfe_u32 v4, v1, 23, 1
	s_branch .LBB7_28
.LBB7_69:
	s_nop 0
	s_sendmsg sendmsg(MSG_DEALLOC_VGPRS)
	s_endpgm
	.section	.rodata,"a",@progbits
	.p2align	6, 0x0
	.amdhsa_kernel _ZN4vllm32rms_norm_static_fp8_quant_kernelIfN3c1015Float8_e4m3fnuzELi4EEEvPT0_PKT_iS7_PKffii
		.amdhsa_group_segment_fixed_size 132
		.amdhsa_private_segment_fixed_size 0
		.amdhsa_kernarg_size 312
		.amdhsa_user_sgpr_count 15
		.amdhsa_user_sgpr_dispatch_ptr 0
		.amdhsa_user_sgpr_queue_ptr 0
		.amdhsa_user_sgpr_kernarg_segment_ptr 1
		.amdhsa_user_sgpr_dispatch_id 0
		.amdhsa_user_sgpr_private_segment_size 0
		.amdhsa_wavefront_size32 1
		.amdhsa_uses_dynamic_stack 0
		.amdhsa_enable_private_segment 0
		.amdhsa_system_sgpr_workgroup_id_x 1
		.amdhsa_system_sgpr_workgroup_id_y 0
		.amdhsa_system_sgpr_workgroup_id_z 0
		.amdhsa_system_sgpr_workgroup_info 0
		.amdhsa_system_vgpr_workitem_id 0
		.amdhsa_next_free_vgpr 24
		.amdhsa_next_free_sgpr 20
		.amdhsa_reserve_vcc 1
		.amdhsa_float_round_mode_32 0
		.amdhsa_float_round_mode_16_64 0
		.amdhsa_float_denorm_mode_32 3
		.amdhsa_float_denorm_mode_16_64 3
		.amdhsa_dx10_clamp 1
		.amdhsa_ieee_mode 1
		.amdhsa_fp16_overflow 0
		.amdhsa_workgroup_processor_mode 1
		.amdhsa_memory_ordered 1
		.amdhsa_forward_progress 0
		.amdhsa_shared_vgpr_count 0
		.amdhsa_exception_fp_ieee_invalid_op 0
		.amdhsa_exception_fp_denorm_src 0
		.amdhsa_exception_fp_ieee_div_zero 0
		.amdhsa_exception_fp_ieee_overflow 0
		.amdhsa_exception_fp_ieee_underflow 0
		.amdhsa_exception_fp_ieee_inexact 0
		.amdhsa_exception_int_div_zero 0
	.end_amdhsa_kernel
	.section	.text._ZN4vllm32rms_norm_static_fp8_quant_kernelIfN3c1015Float8_e4m3fnuzELi4EEEvPT0_PKT_iS7_PKffii,"axG",@progbits,_ZN4vllm32rms_norm_static_fp8_quant_kernelIfN3c1015Float8_e4m3fnuzELi4EEEvPT0_PKT_iS7_PKffii,comdat
.Lfunc_end7:
	.size	_ZN4vllm32rms_norm_static_fp8_quant_kernelIfN3c1015Float8_e4m3fnuzELi4EEEvPT0_PKT_iS7_PKffii, .Lfunc_end7-_ZN4vllm32rms_norm_static_fp8_quant_kernelIfN3c1015Float8_e4m3fnuzELi4EEEvPT0_PKT_iS7_PKffii
                                        ; -- End function
	.section	.AMDGPU.csdata,"",@progbits
; Kernel info:
; codeLenInByte = 4072
; NumSgprs: 22
; NumVgprs: 24
; ScratchSize: 0
; MemoryBound: 0
; FloatMode: 240
; IeeeMode: 1
; LDSByteSize: 132 bytes/workgroup (compile time only)
; SGPRBlocks: 2
; VGPRBlocks: 2
; NumSGPRsForWavesPerEU: 22
; NumVGPRsForWavesPerEU: 24
; Occupancy: 16
; WaveLimiterHint : 0
; COMPUTE_PGM_RSRC2:SCRATCH_EN: 0
; COMPUTE_PGM_RSRC2:USER_SGPR: 15
; COMPUTE_PGM_RSRC2:TRAP_HANDLER: 0
; COMPUTE_PGM_RSRC2:TGID_X_EN: 1
; COMPUTE_PGM_RSRC2:TGID_Y_EN: 0
; COMPUTE_PGM_RSRC2:TGID_Z_EN: 0
; COMPUTE_PGM_RSRC2:TIDIG_COMP_CNT: 0
	.section	.text._ZN4vllm32rms_norm_static_fp8_quant_kernelIfN3c1015Float8_e4m3fnuzELi2EEEvPT0_PKT_iS7_PKffii,"axG",@progbits,_ZN4vllm32rms_norm_static_fp8_quant_kernelIfN3c1015Float8_e4m3fnuzELi2EEEvPT0_PKT_iS7_PKffii,comdat
	.protected	_ZN4vllm32rms_norm_static_fp8_quant_kernelIfN3c1015Float8_e4m3fnuzELi2EEEvPT0_PKT_iS7_PKffii ; -- Begin function _ZN4vllm32rms_norm_static_fp8_quant_kernelIfN3c1015Float8_e4m3fnuzELi2EEEvPT0_PKT_iS7_PKffii
	.globl	_ZN4vllm32rms_norm_static_fp8_quant_kernelIfN3c1015Float8_e4m3fnuzELi2EEEvPT0_PKT_iS7_PKffii
	.p2align	8
	.type	_ZN4vllm32rms_norm_static_fp8_quant_kernelIfN3c1015Float8_e4m3fnuzELi2EEEvPT0_PKT_iS7_PKffii,@function
_ZN4vllm32rms_norm_static_fp8_quant_kernelIfN3c1015Float8_e4m3fnuzELi2EEEvPT0_PKT_iS7_PKffii: ; @_ZN4vllm32rms_norm_static_fp8_quant_kernelIfN3c1015Float8_e4m3fnuzELi2EEEvPT0_PKT_iS7_PKffii
; %bb.0:
	s_clause 0x3
	s_load_b32 s2, s[0:1], 0x10
	s_load_b64 s[4:5], s[0:1], 0x8
	s_load_b32 s10, s[0:1], 0x44
	s_load_b32 s13, s[0:1], 0x30
	s_mov_b32 s3, 0
	s_waitcnt lgkmcnt(0)
	s_mul_i32 s2, s15, s2
	s_delay_alu instid0(SALU_CYCLE_1) | instskip(NEXT) | instid1(SALU_CYCLE_1)
	s_lshl_b64 s[6:7], s[2:3], 2
	s_add_u32 s8, s4, s6
	s_addc_u32 s9, s5, s7
	s_and_b32 s2, s8, 7
	s_and_b32 s12, s10, 0xffff
	s_cmp_lg_u64 s[2:3], 0
	s_cselect_b32 s2, -1, 0
	s_bitcmp1_b32 s13, 0
	s_cselect_b32 s3, -1, 0
	s_delay_alu instid0(SALU_CYCLE_1) | instskip(NEXT) | instid1(SALU_CYCLE_1)
	s_or_b32 s2, s2, s3
	s_and_b32 vcc_lo, exec_lo, s2
	s_cbranch_vccz .LBB8_13
; %bb.1:
	s_sub_i32 s2, 0, s8
	v_mov_b32_e32 v4, 0
	s_bfe_u32 s2, s2, 0x10002
	s_mov_b32 s11, exec_lo
	s_min_i32 s10, s2, s13
	s_delay_alu instid0(SALU_CYCLE_1)
	v_cmpx_gt_i32_e64 s10, v0
	s_cbranch_execz .LBB8_4
; %bb.2:
	v_mov_b32_e32 v4, 0
	s_lshl_b32 s14, s12, 2
	s_mov_b32 s16, 0
	s_mov_b64 s[2:3], s[8:9]
.LBB8_3:                                ; =>This Inner Loop Header: Depth=1
	s_load_b32 s17, s[2:3], 0x0
	s_add_i32 s16, s16, s12
	s_add_u32 s2, s2, s14
	s_addc_u32 s3, s3, 0
	s_cmp_ge_i32 s16, s10
	s_waitcnt lgkmcnt(0)
	v_fmac_f32_e64 v4, s17, s17
	s_cbranch_scc0 .LBB8_3
.LBB8_4:
	s_or_b32 exec_lo, exec_lo, s11
	s_sub_i32 s3, s13, s10
	s_ashr_i32 s11, s10, 31
	s_lshr_b32 s2, s3, 31
	s_mov_b32 s16, exec_lo
	s_add_i32 s2, s3, s2
	s_delay_alu instid0(SALU_CYCLE_1) | instskip(NEXT) | instid1(SALU_CYCLE_1)
	s_ashr_i32 s14, s2, 1
	v_cmpx_gt_i32_e64 s14, v0
	s_cbranch_execz .LBB8_8
; %bb.5:
	v_lshlrev_b32_e32 v1, 3, v0
	s_lshl_b64 s[18:19], s[10:11], 2
	s_add_u32 s2, s4, s6
	s_addc_u32 s17, s5, s7
	s_add_u32 s2, s2, s18
	s_addc_u32 s17, s17, s19
	v_add_co_u32 v1, s2, s2, v1
	s_delay_alu instid0(VALU_DEP_1) | instskip(SKIP_1) | instid1(VALU_DEP_3)
	v_add_co_ci_u32_e64 v2, null, s17, 0, s2
	v_mov_b32_e32 v3, v0
	v_add_co_u32 v1, vcc_lo, v1, 4
	s_delay_alu instid0(VALU_DEP_3)
	v_add_co_ci_u32_e32 v2, vcc_lo, 0, v2, vcc_lo
	s_mov_b32 s17, 0
	s_lshl_b32 s18, s12, 3
.LBB8_6:                                ; =>This Inner Loop Header: Depth=1
	global_load_b64 v[5:6], v[1:2], off offset:-4
	v_add_nc_u32_e32 v3, s12, v3
	v_add_co_u32 v1, vcc_lo, v1, s18
	v_add_co_ci_u32_e32 v2, vcc_lo, 0, v2, vcc_lo
	s_waitcnt vmcnt(0)
	v_fmac_f32_e32 v4, v5, v5
	v_cmp_le_i32_e64 s2, s14, v3
	s_delay_alu instid0(VALU_DEP_2) | instskip(NEXT) | instid1(VALU_DEP_2)
	v_fmac_f32_e32 v4, v6, v6
	s_or_b32 s17, s2, s17
	s_delay_alu instid0(SALU_CYCLE_1)
	s_and_not1_b32 exec_lo, exec_lo, s17
	s_cbranch_execnz .LBB8_6
; %bb.7:
	s_or_b32 exec_lo, exec_lo, s17
.LBB8_8:
	s_delay_alu instid0(SALU_CYCLE_1) | instskip(SKIP_2) | instid1(VALU_DEP_1)
	s_or_b32 exec_lo, exec_lo, s16
	v_lshl_add_u32 v1, s14, 1, v0
	s_mov_b32 s14, exec_lo
	v_cmpx_gt_i32_e64 s3, v1
	s_cbranch_execz .LBB8_12
; %bb.9:
	v_ashrrev_i32_e32 v2, 31, v1
	s_lshl_b64 s[10:11], s[10:11], 2
	s_add_u32 s2, s4, s6
	s_addc_u32 s16, s5, s7
	s_add_u32 s2, s2, s10
	v_lshlrev_b64 v[2:3], 2, v[1:2]
	s_addc_u32 s10, s16, s11
	s_lshl_b32 s11, s12, 2
	s_delay_alu instid0(VALU_DEP_1) | instskip(NEXT) | instid1(VALU_DEP_2)
	v_add_co_u32 v2, vcc_lo, s2, v2
	v_add_co_ci_u32_e32 v3, vcc_lo, s10, v3, vcc_lo
	s_mov_b32 s10, 0
.LBB8_10:                               ; =>This Inner Loop Header: Depth=1
	global_load_b32 v5, v[2:3], off
	v_add_nc_u32_e32 v1, s12, v1
	v_add_co_u32 v2, vcc_lo, v2, s11
	v_add_co_ci_u32_e32 v3, vcc_lo, 0, v3, vcc_lo
	s_delay_alu instid0(VALU_DEP_3) | instskip(NEXT) | instid1(VALU_DEP_1)
	v_cmp_le_i32_e64 s2, s3, v1
	s_or_b32 s10, s2, s10
	s_waitcnt vmcnt(0)
	v_fmac_f32_e32 v4, v5, v5
	s_and_not1_b32 exec_lo, exec_lo, s10
	s_cbranch_execnz .LBB8_10
; %bb.11:
	s_or_b32 exec_lo, exec_lo, s10
.LBB8_12:
	s_delay_alu instid0(SALU_CYCLE_1)
	s_or_b32 exec_lo, exec_lo, s14
	s_branch .LBB8_19
.LBB8_13:
                                        ; implicit-def: $vgpr4
	s_cbranch_execz .LBB8_19
; %bb.14:
	v_mov_b32_e32 v4, 0
	s_ashr_i32 s10, s13, 1
	s_mov_b32 s3, exec_lo
	v_cmpx_gt_i32_e64 s10, v0
	s_cbranch_execz .LBB8_18
; %bb.15:
	v_dual_mov_b32 v4, 0 :: v_dual_lshlrev_b32 v1, 3, v0
	s_add_u32 s2, s4, s6
	s_addc_u32 s4, s5, s7
	v_mov_b32_e32 v3, v0
	s_delay_alu instid0(VALU_DEP_2) | instskip(NEXT) | instid1(VALU_DEP_1)
	v_add_co_u32 v1, s2, s2, v1
	v_add_co_ci_u32_e64 v2, null, s4, 0, s2
	s_mov_b32 s4, 0
	s_delay_alu instid0(VALU_DEP_2) | instskip(NEXT) | instid1(VALU_DEP_2)
	v_add_co_u32 v1, vcc_lo, v1, 4
	v_add_co_ci_u32_e32 v2, vcc_lo, 0, v2, vcc_lo
	s_lshl_b32 s5, s12, 3
.LBB8_16:                               ; =>This Inner Loop Header: Depth=1
	global_load_b64 v[5:6], v[1:2], off offset:-4
	v_add_nc_u32_e32 v3, s12, v3
	v_add_co_u32 v1, vcc_lo, v1, s5
	v_add_co_ci_u32_e32 v2, vcc_lo, 0, v2, vcc_lo
	s_waitcnt vmcnt(0)
	v_fmac_f32_e32 v4, v5, v5
	v_cmp_le_i32_e64 s2, s10, v3
	s_delay_alu instid0(VALU_DEP_2) | instskip(NEXT) | instid1(VALU_DEP_2)
	v_fmac_f32_e32 v4, v6, v6
	s_or_b32 s4, s2, s4
	s_delay_alu instid0(SALU_CYCLE_1)
	s_and_not1_b32 exec_lo, exec_lo, s4
	s_cbranch_execnz .LBB8_16
; %bb.17:
	s_or_b32 exec_lo, exec_lo, s4
.LBB8_18:
	s_delay_alu instid0(SALU_CYCLE_1)
	s_or_b32 exec_lo, exec_lo, s3
.LBB8_19:
	v_mbcnt_lo_u32_b32 v1, -1, 0
	v_and_b32_e32 v3, 0x3e0, v0
	s_mov_b32 s2, exec_lo
	s_delay_alu instid0(VALU_DEP_2) | instskip(NEXT) | instid1(VALU_DEP_2)
	v_cmp_ne_u32_e32 vcc_lo, 31, v1
	v_sub_nc_u32_e64 v12, s12, v3 clamp
	v_add_nc_u32_e32 v3, 1, v1
	v_add_co_ci_u32_e32 v2, vcc_lo, 0, v1, vcc_lo
	v_cmp_gt_u32_e32 vcc_lo, 30, v1
	s_delay_alu instid0(VALU_DEP_2)
	v_lshlrev_b32_e32 v2, 2, v2
	v_cndmask_b32_e64 v6, 0, 1, vcc_lo
	v_cmp_lt_u32_e32 vcc_lo, v3, v12
	ds_bpermute_b32 v5, v2, v4
	s_waitcnt lgkmcnt(0)
	v_dual_add_f32 v7, v4, v5 :: v_dual_lshlrev_b32 v6, 1, v6
	s_delay_alu instid0(VALU_DEP_1) | instskip(NEXT) | instid1(VALU_DEP_2)
	v_cndmask_b32_e32 v7, v4, v7, vcc_lo
	v_add_lshl_u32 v5, v6, v1, 2
	v_cmp_gt_u32_e32 vcc_lo, 28, v1
	ds_bpermute_b32 v6, v5, v7
	v_cndmask_b32_e64 v4, 0, 1, vcc_lo
	s_delay_alu instid0(VALU_DEP_1) | instskip(SKIP_1) | instid1(VALU_DEP_1)
	v_lshlrev_b32_e32 v8, 2, v4
	v_add_nc_u32_e32 v4, 2, v1
	v_cmp_lt_u32_e32 vcc_lo, v4, v12
	s_waitcnt lgkmcnt(0)
	v_add_f32_e32 v9, v7, v6
	v_add_lshl_u32 v6, v8, v1, 2
	s_delay_alu instid0(VALU_DEP_2) | instskip(SKIP_2) | instid1(VALU_DEP_1)
	v_cndmask_b32_e32 v9, v7, v9, vcc_lo
	v_cmp_gt_u32_e32 vcc_lo, 24, v1
	v_cndmask_b32_e64 v7, 0, 1, vcc_lo
	v_lshlrev_b32_e32 v10, 3, v7
	ds_bpermute_b32 v8, v6, v9
	v_add_nc_u32_e32 v7, 4, v1
	s_delay_alu instid0(VALU_DEP_1) | instskip(SKIP_3) | instid1(VALU_DEP_2)
	v_cmp_lt_u32_e32 vcc_lo, v7, v12
	s_waitcnt lgkmcnt(0)
	v_add_f32_e32 v11, v9, v8
	v_add_lshl_u32 v8, v10, v1, 2
	v_cndmask_b32_e32 v11, v9, v11, vcc_lo
	v_cmp_gt_u32_e32 vcc_lo, 16, v1
	ds_bpermute_b32 v10, v8, v11
	v_cndmask_b32_e64 v9, 0, 1, vcc_lo
	s_delay_alu instid0(VALU_DEP_1) | instskip(SKIP_1) | instid1(VALU_DEP_1)
	v_lshlrev_b32_e32 v13, 4, v9
	v_add_nc_u32_e32 v9, 8, v1
	v_cmp_lt_u32_e32 vcc_lo, v9, v12
	s_waitcnt lgkmcnt(0)
	v_add_f32_e32 v14, v11, v10
	v_add_lshl_u32 v10, v13, v1, 2
	s_delay_alu instid0(VALU_DEP_2)
	v_cndmask_b32_e32 v13, v11, v14, vcc_lo
	v_add_nc_u32_e32 v11, 16, v1
	ds_bpermute_b32 v14, v10, v13
	v_cmp_lt_u32_e32 vcc_lo, v11, v12
	s_waitcnt lgkmcnt(0)
	v_add_f32_e32 v14, v13, v14
	s_delay_alu instid0(VALU_DEP_1)
	v_cndmask_b32_e32 v12, v13, v14, vcc_lo
	v_cmpx_eq_u32_e32 0, v1
	s_cbranch_execz .LBB8_21
; %bb.20:
	v_lshrrev_b32_e32 v13, 3, v0
	s_delay_alu instid0(VALU_DEP_1)
	v_and_b32_e32 v13, 0x7c, v13
	ds_store_b32 v13, v12
.LBB8_21:
	s_or_b32 exec_lo, exec_lo, s2
	s_delay_alu instid0(SALU_CYCLE_1)
	s_mov_b32 s2, exec_lo
	s_waitcnt lgkmcnt(0)
	s_barrier
	buffer_gl0_inv
	v_cmpx_gt_u32_e32 32, v0
	s_cbranch_execz .LBB8_23
; %bb.22:
	v_lshlrev_b32_e32 v1, 2, v1
	s_add_i32 s3, s12, 31
	s_delay_alu instid0(SALU_CYCLE_1) | instskip(NEXT) | instid1(SALU_CYCLE_1)
	s_lshr_b32 s3, s3, 5
	v_cmp_gt_u32_e32 vcc_lo, s3, v3
	ds_load_b32 v1, v1
	s_waitcnt lgkmcnt(0)
	ds_bpermute_b32 v2, v2, v1
	s_waitcnt lgkmcnt(0)
	v_add_f32_e32 v2, v1, v2
	s_delay_alu instid0(VALU_DEP_1) | instskip(SKIP_4) | instid1(VALU_DEP_1)
	v_cndmask_b32_e32 v1, v1, v2, vcc_lo
	v_cmp_gt_u32_e32 vcc_lo, s3, v4
	ds_bpermute_b32 v2, v5, v1
	s_waitcnt lgkmcnt(0)
	v_add_f32_e32 v2, v1, v2
	v_cndmask_b32_e32 v1, v1, v2, vcc_lo
	v_cmp_gt_u32_e32 vcc_lo, s3, v7
	ds_bpermute_b32 v2, v6, v1
	s_waitcnt lgkmcnt(0)
	v_add_f32_e32 v2, v1, v2
	s_delay_alu instid0(VALU_DEP_1) | instskip(SKIP_4) | instid1(VALU_DEP_1)
	v_cndmask_b32_e32 v1, v1, v2, vcc_lo
	v_cmp_gt_u32_e32 vcc_lo, s3, v9
	ds_bpermute_b32 v2, v8, v1
	s_waitcnt lgkmcnt(0)
	v_add_f32_e32 v2, v1, v2
	v_cndmask_b32_e32 v1, v1, v2, vcc_lo
	v_cmp_gt_u32_e32 vcc_lo, s3, v11
	ds_bpermute_b32 v2, v10, v1
	s_waitcnt lgkmcnt(0)
	v_add_f32_e32 v2, v1, v2
	s_delay_alu instid0(VALU_DEP_1)
	v_cndmask_b32_e32 v12, v1, v2, vcc_lo
.LBB8_23:
	s_or_b32 exec_lo, exec_lo, s2
	s_delay_alu instid0(SALU_CYCLE_1)
	s_mov_b32 s2, exec_lo
	v_cmpx_eq_u32_e32 0, v0
	s_cbranch_execz .LBB8_25
; %bb.24:
	v_cvt_f32_i32_e32 v1, s13
	s_load_b32 s3, s[0:1], 0x28
	s_delay_alu instid0(VALU_DEP_1) | instskip(SKIP_1) | instid1(VALU_DEP_2)
	v_div_scale_f32 v2, null, v1, v1, v12
	v_div_scale_f32 v5, vcc_lo, v12, v1, v12
	v_rcp_f32_e32 v3, v2
	s_waitcnt_depctr 0xfff
	v_fma_f32 v4, -v2, v3, 1.0
	s_delay_alu instid0(VALU_DEP_1) | instskip(NEXT) | instid1(VALU_DEP_1)
	v_fmac_f32_e32 v3, v4, v3
	v_mul_f32_e32 v4, v5, v3
	s_delay_alu instid0(VALU_DEP_1) | instskip(NEXT) | instid1(VALU_DEP_1)
	v_fma_f32 v6, -v2, v4, v5
	v_fmac_f32_e32 v4, v6, v3
	s_delay_alu instid0(VALU_DEP_1) | instskip(NEXT) | instid1(VALU_DEP_1)
	v_fma_f32 v2, -v2, v4, v5
	v_div_fmas_f32 v2, v2, v3, v4
	s_delay_alu instid0(VALU_DEP_1) | instskip(SKIP_1) | instid1(VALU_DEP_1)
	v_div_fixup_f32 v1, v2, v1, v12
	s_waitcnt lgkmcnt(0)
	v_add_f32_e32 v1, s3, v1
	s_delay_alu instid0(VALU_DEP_1) | instskip(SKIP_1) | instid1(VALU_DEP_2)
	v_mul_f32_e32 v2, 0x4b800000, v1
	v_cmp_gt_f32_e32 vcc_lo, 0x800000, v1
	v_cndmask_b32_e32 v1, v1, v2, vcc_lo
	s_delay_alu instid0(VALU_DEP_1) | instskip(SKIP_2) | instid1(VALU_DEP_1)
	v_rsq_f32_e32 v1, v1
	s_waitcnt_depctr 0xfff
	v_mul_f32_e32 v2, 0x45800000, v1
	v_dual_cndmask_b32 v1, v1, v2 :: v_dual_mov_b32 v2, 0
	ds_store_b32 v2, v1 offset:128
.LBB8_25:
	s_or_b32 exec_lo, exec_lo, s2
	s_lshr_b32 s2, s13, 31
	s_waitcnt lgkmcnt(0)
	s_add_i32 s2, s13, s2
	s_barrier
	s_ashr_i32 s10, s2, 1
	buffer_gl0_inv
	s_mov_b32 s2, exec_lo
	v_cmpx_gt_i32_e64 s10, v0
	s_cbranch_execz .LBB8_48
; %bb.26:
	s_clause 0x1
	s_load_b128 s[4:7], s[0:1], 0x18
	s_load_b64 s[2:3], s[0:1], 0x0
	s_mul_i32 s15, s15, s13
	s_lshl_b32 s11, s12, 3
	v_lshl_add_u32 v12, v0, 1, s15
	s_mov_b32 s13, 0x43600000
	s_waitcnt lgkmcnt(0)
	s_load_b32 s7, s[6:7], 0x0
	s_lshl_b32 s6, s12, 1
	s_waitcnt lgkmcnt(0)
	v_div_scale_f32 v1, null, s7, s7, 1.0
	v_div_scale_f32 v4, vcc_lo, 1.0, s7, 1.0
	s_delay_alu instid0(VALU_DEP_2) | instskip(SKIP_2) | instid1(VALU_DEP_1)
	v_rcp_f32_e32 v3, v1
	s_waitcnt_depctr 0xfff
	v_fma_f32 v2, -v1, v3, 1.0
	v_dual_fmac_f32 v3, v2, v3 :: v_dual_mov_b32 v2, 0
	s_delay_alu instid0(VALU_DEP_1) | instskip(SKIP_2) | instid1(VALU_DEP_1)
	v_mul_f32_e32 v5, v4, v3
	ds_load_b32 v11, v2 offset:128
	v_fma_f32 v6, -v1, v5, v4
	v_fmac_f32_e32 v5, v6, v3
	s_delay_alu instid0(VALU_DEP_1) | instskip(NEXT) | instid1(VALU_DEP_1)
	v_fma_f32 v1, -v1, v5, v4
	v_div_fmas_f32 v3, v1, v3, v5
	v_lshl_or_b32 v1, v0, 3, 4
	s_delay_alu instid0(VALU_DEP_2) | instskip(NEXT) | instid1(VALU_DEP_2)
	v_div_fixup_f32 v13, v3, s7, 1.0
	v_dual_mov_b32 v4, v2 :: v_dual_mov_b32 v3, v1
	s_mov_b32 s7, 0
	s_branch .LBB8_31
.LBB8_27:                               ;   in Loop: Header=BB8_31 Depth=1
	s_or_b32 exec_lo, exec_lo, s0
	s_delay_alu instid0(VALU_DEP_2) | instskip(NEXT) | instid1(VALU_DEP_2)
	v_lshrrev_b64 v[5:6], 20, v[5:6]
	v_cmp_gt_i32_e32 vcc_lo, 16, v1
	v_and_b32_e32 v7, 0x80, v7
	v_min_i32_e32 v8, 15, v1
	v_cmp_eq_u32_e64 s0, 0, v1
	v_dual_cndmask_b32 v6, 0, v6 :: v_dual_cndmask_b32 v5, 7, v5
	s_delay_alu instid0(VALU_DEP_3) | instskip(NEXT) | instid1(VALU_DEP_2)
	v_lshl_or_b32 v7, v8, 3, v7
	v_cmp_eq_u64_e32 vcc_lo, 0, v[5:6]
	s_delay_alu instid0(VALU_DEP_2)
	v_and_or_b32 v1, v5, 7, v7
	s_and_b32 s0, s0, vcc_lo
	s_delay_alu instid0(VALU_DEP_1) | instid1(SALU_CYCLE_1)
	v_cndmask_b32_e64 v5, v1, 0, s0
.LBB8_28:                               ;   in Loop: Header=BB8_31 Depth=1
	s_or_b32 exec_lo, exec_lo, s16
.LBB8_29:                               ;   in Loop: Header=BB8_31 Depth=1
	s_and_not1_saveexec_b32 s0, s15
	s_delay_alu instid0(SALU_CYCLE_1)
	s_or_b32 exec_lo, exec_lo, s0
.LBB8_30:                               ;   in Loop: Header=BB8_31 Depth=1
	s_and_not1_saveexec_b32 s0, s14
	s_delay_alu instid0(SALU_CYCLE_1) | instskip(SKIP_4) | instid1(VALU_DEP_4)
	s_or_b32 exec_lo, exec_lo, s0
	v_add_nc_u32_e32 v0, s12, v0
	v_add_co_u32 v3, s0, v3, s11
	v_add_nc_u32_e32 v1, 1, v12
	v_add_nc_u32_e32 v12, s6, v12
	v_cmp_le_i32_e32 vcc_lo, s10, v0
	v_add_co_ci_u32_e64 v4, s0, 0, v4, s0
	global_store_b8 v1, v5, s[2:3]
	s_or_b32 s7, vcc_lo, s7
	s_delay_alu instid0(SALU_CYCLE_1)
	s_and_not1_b32 exec_lo, exec_lo, s7
	s_cbranch_execz .LBB8_48
.LBB8_31:                               ; =>This Inner Loop Header: Depth=1
	s_delay_alu instid0(VALU_DEP_1) | instskip(NEXT) | instid1(VALU_DEP_2)
	v_add_co_u32 v5, vcc_lo, s8, v3
	v_add_co_ci_u32_e32 v6, vcc_lo, s9, v4, vcc_lo
	v_add_co_u32 v7, vcc_lo, s4, v3
	v_add_co_ci_u32_e32 v8, vcc_lo, s5, v4, vcc_lo
	global_load_b64 v[5:6], v[5:6], off offset:-4
	s_mov_b32 s0, exec_lo
	global_load_b64 v[7:8], v[7:8], off offset:-4
	s_waitcnt vmcnt(1) lgkmcnt(0)
	v_mul_f32_e32 v1, v5, v11
	s_waitcnt vmcnt(0)
	s_delay_alu instid0(VALU_DEP_1) | instskip(NEXT) | instid1(VALU_DEP_1)
	v_mul_f32_e32 v1, v1, v7
	v_mul_f32_e32 v1, v13, v1
	s_delay_alu instid0(VALU_DEP_1) | instskip(NEXT) | instid1(VALU_DEP_1)
	v_minmax_f32 v7, v1, s13, 0xc3600000
	v_lshrrev_b32_e32 v5, 24, v7
	v_and_b32_e32 v1, 0x7f800000, v7
	s_delay_alu instid0(VALU_DEP_2) | instskip(NEXT) | instid1(VALU_DEP_2)
	v_or_b32_e32 v9, 0x7f, v5
	v_cmpx_ne_u64_e32 0x7f800000, v[1:2]
	s_xor_b32 s14, exec_lo, s0
	s_cbranch_execz .LBB8_41
; %bb.32:                               ;   in Loop: Header=BB8_31 Depth=1
	v_and_b32_e32 v1, 0x7fffffff, v7
	s_mov_b32 s0, exec_lo
	s_delay_alu instid0(VALU_DEP_1)
	v_cmpx_gt_u64_e32 0x43700001, v[1:2]
	s_xor_b32 s15, exec_lo, s0
	s_cbranch_execz .LBB8_40
; %bb.33:                               ;   in Loop: Header=BB8_31 Depth=1
	v_mov_b32_e32 v9, 0
	s_mov_b32 s16, exec_lo
	v_cmpx_ne_u32_e32 0, v7
	s_cbranch_execz .LBB8_39
; %bb.34:                               ;   in Loop: Header=BB8_31 Depth=1
	v_bfe_u32 v14, v7, 23, 8
	v_and_b32_e32 v7, 0x7fffff, v7
	s_delay_alu instid0(VALU_DEP_2) | instskip(SKIP_1) | instid1(VALU_DEP_2)
	v_sub_nc_u32_e64 v1, 0x78, v14 clamp
	v_cmp_eq_u32_e32 vcc_lo, 0, v14
	v_cndmask_b32_e64 v19, v1, 0x77, vcc_lo
	s_delay_alu instid0(VALU_DEP_1) | instskip(NEXT) | instid1(VALU_DEP_1)
	v_add_nc_u32_e32 v9, 20, v19
	v_lshlrev_b64 v[9:10], v9, -1
	v_mov_b32_e32 v10, v2
	v_or_b32_e32 v1, 0x800000, v7
	s_delay_alu instid0(VALU_DEP_3) | instskip(NEXT) | instid1(VALU_DEP_2)
	v_not_b32_e32 v9, v9
	v_cndmask_b32_e32 v1, v1, v7, vcc_lo
	v_add_nc_u32_e32 v7, 19, v19
	s_delay_alu instid0(VALU_DEP_2) | instskip(NEXT) | instid1(VALU_DEP_2)
	v_lshrrev_b64 v[15:16], v19, v[1:2]
	v_lshlrev_b64 v[17:18], v7, 1
	v_and_b32_e32 v9, v1, v9
	v_add_nc_u32_e32 v7, 0xffffff89, v14
	s_delay_alu instid0(VALU_DEP_4) | instskip(NEXT) | instid1(VALU_DEP_3)
	v_and_b32_e32 v1, 0x100000, v15
	v_cmp_eq_u64_e64 s0, v[9:10], v[17:18]
	s_delay_alu instid0(VALU_DEP_2) | instskip(NEXT) | instid1(VALU_DEP_4)
	v_cmp_eq_u64_e64 s1, 0, v[1:2]
	v_cndmask_b32_e64 v1, v7, 0xffffff8a, vcc_lo
	v_lshrrev_b32_e32 v7, 23, v15
	s_delay_alu instid0(VALU_DEP_3) | instskip(NEXT) | instid1(VALU_DEP_1)
	s_and_b32 vcc_lo, s1, s0
	v_add3_u32 v7, v1, v19, v7
	v_subrev_co_ci_u32_e32 v9, vcc_lo, 0, v15, vcc_lo
	s_mov_b32 s0, exec_lo
	s_delay_alu instid0(VALU_DEP_2) | instskip(NEXT) | instid1(VALU_DEP_2)
	v_add_nc_u32_e32 v14, -1, v7
	v_and_b32_e32 v1, 0xfffff, v9
	s_delay_alu instid0(VALU_DEP_1) | instskip(SKIP_1) | instid1(VALU_DEP_4)
	v_add_co_u32 v9, vcc_lo, v1, v15
	v_add_co_ci_u32_e32 v10, vcc_lo, 0, v16, vcc_lo
                                        ; implicit-def: $vgpr1
	v_cmpx_ne_u32_e32 0, v14
	s_xor_b32 s0, exec_lo, s0
; %bb.35:                               ;   in Loop: Header=BB8_31 Depth=1
	s_delay_alu instid0(VALU_DEP_3) | instskip(SKIP_1) | instid1(VALU_DEP_2)
	v_and_b32_e32 v1, 0x1000000, v9
	v_bfe_u32 v15, v9, 24, 1
	v_cmp_eq_u64_e32 vcc_lo, 0, v[1:2]
	s_delay_alu instid0(VALU_DEP_2)
	v_lshrrev_b64 v[9:10], v15, v[9:10]
	v_cndmask_b32_e32 v1, v7, v14, vcc_lo
; %bb.36:                               ;   in Loop: Header=BB8_31 Depth=1
	s_and_not1_saveexec_b32 s0, s0
; %bb.37:                               ;   in Loop: Header=BB8_31 Depth=1
	s_delay_alu instid0(VALU_DEP_2)
	v_bfe_u32 v1, v9, 23, 1
; %bb.38:                               ;   in Loop: Header=BB8_31 Depth=1
	s_or_b32 exec_lo, exec_lo, s0
	s_delay_alu instid0(VALU_DEP_3) | instskip(NEXT) | instid1(VALU_DEP_2)
	v_lshrrev_b64 v[9:10], 20, v[9:10]
	v_cmp_gt_i32_e32 vcc_lo, 16, v1
	v_and_b32_e32 v5, 0x80, v5
	v_min_i32_e32 v7, 15, v1
	v_cmp_eq_u32_e64 s0, 0, v1
	v_dual_cndmask_b32 v10, 0, v10 :: v_dual_cndmask_b32 v9, 7, v9
	s_delay_alu instid0(VALU_DEP_3) | instskip(NEXT) | instid1(VALU_DEP_2)
	v_lshl_or_b32 v5, v7, 3, v5
	v_cmp_eq_u64_e32 vcc_lo, 0, v[9:10]
	s_delay_alu instid0(VALU_DEP_2)
	v_and_or_b32 v1, v9, 7, v5
	s_and_b32 s0, s0, vcc_lo
	s_delay_alu instid0(VALU_DEP_1) | instid1(SALU_CYCLE_1)
	v_cndmask_b32_e64 v9, v1, 0, s0
.LBB8_39:                               ;   in Loop: Header=BB8_31 Depth=1
	s_or_b32 exec_lo, exec_lo, s16
.LBB8_40:                               ;   in Loop: Header=BB8_31 Depth=1
	s_and_not1_saveexec_b32 s0, s15
	s_delay_alu instid0(SALU_CYCLE_1)
	s_or_b32 exec_lo, exec_lo, s0
.LBB8_41:                               ;   in Loop: Header=BB8_31 Depth=1
	s_and_not1_saveexec_b32 s0, s14
	s_delay_alu instid0(SALU_CYCLE_1) | instskip(SKIP_4) | instid1(VALU_DEP_1)
	s_or_b32 exec_lo, exec_lo, s0
	v_mul_f32_e32 v1, v6, v11
	global_store_b8 v12, v9, s[2:3]
	s_mov_b32 s0, exec_lo
	v_mul_f32_e32 v1, v1, v8
	v_mul_f32_e32 v1, v13, v1
	s_delay_alu instid0(VALU_DEP_1) | instskip(NEXT) | instid1(VALU_DEP_1)
	v_minmax_f32 v6, v1, s13, 0xc3600000
	v_lshrrev_b32_e32 v7, 24, v6
	v_and_b32_e32 v1, 0x7f800000, v6
	s_delay_alu instid0(VALU_DEP_2) | instskip(NEXT) | instid1(VALU_DEP_2)
	v_or_b32_e32 v5, 0x7f, v7
	v_cmpx_ne_u64_e32 0x7f800000, v[1:2]
	s_xor_b32 s14, exec_lo, s0
	s_cbranch_execz .LBB8_30
; %bb.42:                               ;   in Loop: Header=BB8_31 Depth=1
	v_and_b32_e32 v1, 0x7fffffff, v6
	s_mov_b32 s0, exec_lo
	s_delay_alu instid0(VALU_DEP_1)
	v_cmpx_gt_u64_e32 0x43700001, v[1:2]
	s_xor_b32 s15, exec_lo, s0
	s_cbranch_execz .LBB8_29
; %bb.43:                               ;   in Loop: Header=BB8_31 Depth=1
	v_mov_b32_e32 v5, 0
	s_mov_b32 s16, exec_lo
	v_cmpx_ne_u32_e32 0, v6
	s_cbranch_execz .LBB8_28
; %bb.44:                               ;   in Loop: Header=BB8_31 Depth=1
	v_bfe_u32 v10, v6, 23, 8
	v_and_b32_e32 v5, 0x7fffff, v6
	s_delay_alu instid0(VALU_DEP_2) | instskip(SKIP_2) | instid1(VALU_DEP_3)
	v_sub_nc_u32_e64 v1, 0x78, v10 clamp
	v_cmp_eq_u32_e32 vcc_lo, 0, v10
	v_add_nc_u32_e32 v10, 0xffffff89, v10
	v_cndmask_b32_e64 v16, v1, 0x77, vcc_lo
	v_or_b32_e32 v1, 0x800000, v5
	s_delay_alu instid0(VALU_DEP_1) | instskip(SKIP_1) | instid1(VALU_DEP_2)
	v_dual_cndmask_b32 v1, v1, v5 :: v_dual_add_nc_u32 v6, 20, v16
	v_add_nc_u32_e32 v8, 19, v16
	v_lshlrev_b64 v[5:6], v6, -1
	s_delay_alu instid0(VALU_DEP_3) | instskip(NEXT) | instid1(VALU_DEP_3)
	v_lshrrev_b64 v[14:15], v16, v[1:2]
	v_lshlrev_b64 v[8:9], v8, 1
	v_mov_b32_e32 v6, v2
	s_delay_alu instid0(VALU_DEP_4) | instskip(NEXT) | instid1(VALU_DEP_1)
	v_not_b32_e32 v5, v5
	v_and_b32_e32 v5, v1, v5
	v_and_b32_e32 v1, 0x100000, v14
	s_delay_alu instid0(VALU_DEP_2) | instskip(NEXT) | instid1(VALU_DEP_2)
	v_cmp_eq_u64_e64 s0, v[5:6], v[8:9]
	v_cmp_eq_u64_e64 s1, 0, v[1:2]
	v_cndmask_b32_e64 v1, v10, 0xffffff8a, vcc_lo
	v_lshrrev_b32_e32 v5, 23, v14
	s_delay_alu instid0(VALU_DEP_3) | instskip(NEXT) | instid1(VALU_DEP_1)
	s_and_b32 vcc_lo, s1, s0
	v_add3_u32 v8, v1, v16, v5
	v_subrev_co_ci_u32_e32 v6, vcc_lo, 0, v14, vcc_lo
	s_mov_b32 s0, exec_lo
	s_delay_alu instid0(VALU_DEP_2) | instskip(NEXT) | instid1(VALU_DEP_2)
	v_add_nc_u32_e32 v9, -1, v8
	v_and_b32_e32 v1, 0xfffff, v6
	s_delay_alu instid0(VALU_DEP_1) | instskip(SKIP_1) | instid1(VALU_DEP_4)
	v_add_co_u32 v5, vcc_lo, v1, v14
	v_add_co_ci_u32_e32 v6, vcc_lo, 0, v15, vcc_lo
                                        ; implicit-def: $vgpr1
	v_cmpx_ne_u32_e32 0, v9
	s_xor_b32 s0, exec_lo, s0
; %bb.45:                               ;   in Loop: Header=BB8_31 Depth=1
	s_delay_alu instid0(VALU_DEP_3) | instskip(SKIP_1) | instid1(VALU_DEP_2)
	v_and_b32_e32 v1, 0x1000000, v5
	v_bfe_u32 v10, v5, 24, 1
	v_cmp_eq_u64_e32 vcc_lo, 0, v[1:2]
	s_delay_alu instid0(VALU_DEP_2)
	v_lshrrev_b64 v[5:6], v10, v[5:6]
	v_cndmask_b32_e32 v1, v8, v9, vcc_lo
; %bb.46:                               ;   in Loop: Header=BB8_31 Depth=1
	s_and_not1_saveexec_b32 s0, s0
	s_cbranch_execz .LBB8_27
; %bb.47:                               ;   in Loop: Header=BB8_31 Depth=1
	s_delay_alu instid0(VALU_DEP_2)
	v_bfe_u32 v1, v5, 23, 1
	s_branch .LBB8_27
.LBB8_48:
	s_nop 0
	s_sendmsg sendmsg(MSG_DEALLOC_VGPRS)
	s_endpgm
	.section	.rodata,"a",@progbits
	.p2align	6, 0x0
	.amdhsa_kernel _ZN4vllm32rms_norm_static_fp8_quant_kernelIfN3c1015Float8_e4m3fnuzELi2EEEvPT0_PKT_iS7_PKffii
		.amdhsa_group_segment_fixed_size 132
		.amdhsa_private_segment_fixed_size 0
		.amdhsa_kernarg_size 312
		.amdhsa_user_sgpr_count 15
		.amdhsa_user_sgpr_dispatch_ptr 0
		.amdhsa_user_sgpr_queue_ptr 0
		.amdhsa_user_sgpr_kernarg_segment_ptr 1
		.amdhsa_user_sgpr_dispatch_id 0
		.amdhsa_user_sgpr_private_segment_size 0
		.amdhsa_wavefront_size32 1
		.amdhsa_uses_dynamic_stack 0
		.amdhsa_enable_private_segment 0
		.amdhsa_system_sgpr_workgroup_id_x 1
		.amdhsa_system_sgpr_workgroup_id_y 0
		.amdhsa_system_sgpr_workgroup_id_z 0
		.amdhsa_system_sgpr_workgroup_info 0
		.amdhsa_system_vgpr_workitem_id 0
		.amdhsa_next_free_vgpr 20
		.amdhsa_next_free_sgpr 20
		.amdhsa_reserve_vcc 1
		.amdhsa_float_round_mode_32 0
		.amdhsa_float_round_mode_16_64 0
		.amdhsa_float_denorm_mode_32 3
		.amdhsa_float_denorm_mode_16_64 3
		.amdhsa_dx10_clamp 1
		.amdhsa_ieee_mode 1
		.amdhsa_fp16_overflow 0
		.amdhsa_workgroup_processor_mode 1
		.amdhsa_memory_ordered 1
		.amdhsa_forward_progress 0
		.amdhsa_shared_vgpr_count 0
		.amdhsa_exception_fp_ieee_invalid_op 0
		.amdhsa_exception_fp_denorm_src 0
		.amdhsa_exception_fp_ieee_div_zero 0
		.amdhsa_exception_fp_ieee_overflow 0
		.amdhsa_exception_fp_ieee_underflow 0
		.amdhsa_exception_fp_ieee_inexact 0
		.amdhsa_exception_int_div_zero 0
	.end_amdhsa_kernel
	.section	.text._ZN4vllm32rms_norm_static_fp8_quant_kernelIfN3c1015Float8_e4m3fnuzELi2EEEvPT0_PKT_iS7_PKffii,"axG",@progbits,_ZN4vllm32rms_norm_static_fp8_quant_kernelIfN3c1015Float8_e4m3fnuzELi2EEEvPT0_PKT_iS7_PKffii,comdat
.Lfunc_end8:
	.size	_ZN4vllm32rms_norm_static_fp8_quant_kernelIfN3c1015Float8_e4m3fnuzELi2EEEvPT0_PKT_iS7_PKffii, .Lfunc_end8-_ZN4vllm32rms_norm_static_fp8_quant_kernelIfN3c1015Float8_e4m3fnuzELi2EEEvPT0_PKT_iS7_PKffii
                                        ; -- End function
	.section	.AMDGPU.csdata,"",@progbits
; Kernel info:
; codeLenInByte = 2892
; NumSgprs: 22
; NumVgprs: 20
; ScratchSize: 0
; MemoryBound: 0
; FloatMode: 240
; IeeeMode: 1
; LDSByteSize: 132 bytes/workgroup (compile time only)
; SGPRBlocks: 2
; VGPRBlocks: 2
; NumSGPRsForWavesPerEU: 22
; NumVGPRsForWavesPerEU: 20
; Occupancy: 16
; WaveLimiterHint : 0
; COMPUTE_PGM_RSRC2:SCRATCH_EN: 0
; COMPUTE_PGM_RSRC2:USER_SGPR: 15
; COMPUTE_PGM_RSRC2:TRAP_HANDLER: 0
; COMPUTE_PGM_RSRC2:TGID_X_EN: 1
; COMPUTE_PGM_RSRC2:TGID_Y_EN: 0
; COMPUTE_PGM_RSRC2:TGID_Z_EN: 0
; COMPUTE_PGM_RSRC2:TIDIG_COMP_CNT: 0
	.section	.text._ZN4vllm32rms_norm_static_fp8_quant_kernelIfN3c1015Float8_e4m3fnuzELi1EEEvPT0_PKT_iS7_PKffii,"axG",@progbits,_ZN4vllm32rms_norm_static_fp8_quant_kernelIfN3c1015Float8_e4m3fnuzELi1EEEvPT0_PKT_iS7_PKffii,comdat
	.protected	_ZN4vllm32rms_norm_static_fp8_quant_kernelIfN3c1015Float8_e4m3fnuzELi1EEEvPT0_PKT_iS7_PKffii ; -- Begin function _ZN4vllm32rms_norm_static_fp8_quant_kernelIfN3c1015Float8_e4m3fnuzELi1EEEvPT0_PKT_iS7_PKffii
	.globl	_ZN4vllm32rms_norm_static_fp8_quant_kernelIfN3c1015Float8_e4m3fnuzELi1EEEvPT0_PKT_iS7_PKffii
	.p2align	8
	.type	_ZN4vllm32rms_norm_static_fp8_quant_kernelIfN3c1015Float8_e4m3fnuzELi1EEEvPT0_PKT_iS7_PKffii,@function
_ZN4vllm32rms_norm_static_fp8_quant_kernelIfN3c1015Float8_e4m3fnuzELi1EEEvPT0_PKT_iS7_PKffii: ; @_ZN4vllm32rms_norm_static_fp8_quant_kernelIfN3c1015Float8_e4m3fnuzELi1EEEvPT0_PKT_iS7_PKffii
; %bb.0:
	s_clause 0x3
	s_load_b32 s2, s[0:1], 0x10
	s_load_b64 s[4:5], s[0:1], 0x8
	s_load_b32 s11, s[0:1], 0x44
	s_load_b32 s8, s[0:1], 0x30
	s_mov_b32 s3, 0
	s_waitcnt lgkmcnt(0)
	s_mul_i32 s2, s15, s2
	s_delay_alu instid0(SALU_CYCLE_1) | instskip(NEXT) | instid1(SALU_CYCLE_1)
	s_lshl_b64 s[6:7], s[2:3], 2
	s_add_u32 s9, s4, s6
	s_addc_u32 s10, s5, s7
	s_and_b32 s2, s9, 3
	s_and_b32 s11, s11, 0xffff
	s_cmp_lg_u64 s[2:3], 0
	s_cbranch_scc0 .LBB9_6
; %bb.1:
	v_mov_b32_e32 v3, 0
	s_min_i32 s2, s8, 0
	s_mov_b32 s12, exec_lo
	s_sub_i32 s13, s8, s2
	s_delay_alu instid0(SALU_CYCLE_1)
	v_cmpx_gt_i32_e64 s13, v0
	s_cbranch_execz .LBB9_5
; %bb.2:
	s_ashr_i32 s3, s2, 31
	v_dual_mov_b32 v4, v0 :: v_dual_lshlrev_b32 v1, 2, v0
	s_lshl_b64 s[2:3], s[2:3], 2
	s_add_u32 s14, s4, s6
	s_addc_u32 s16, s5, s7
	s_add_u32 s2, s14, s2
	s_addc_u32 s3, s16, s3
	v_add_co_u32 v1, s2, s2, v1
	s_delay_alu instid0(VALU_DEP_1)
	v_add_co_ci_u32_e64 v2, null, s3, 0, s2
	v_mov_b32_e32 v3, 0
	s_mov_b32 s3, 0
	s_lshl_b32 s14, s11, 2
.LBB9_3:                                ; =>This Inner Loop Header: Depth=1
	global_load_b32 v5, v[1:2], off
	v_add_nc_u32_e32 v4, s11, v4
	v_add_co_u32 v1, vcc_lo, v1, s14
	v_add_co_ci_u32_e32 v2, vcc_lo, 0, v2, vcc_lo
	s_waitcnt vmcnt(0)
	v_fmac_f32_e32 v3, v5, v5
	v_cmp_le_i32_e64 s2, s13, v4
	s_delay_alu instid0(VALU_DEP_1) | instskip(NEXT) | instid1(SALU_CYCLE_1)
	s_or_b32 s3, s2, s3
	s_and_not1_b32 exec_lo, exec_lo, s3
	s_cbranch_execnz .LBB9_3
; %bb.4:
	s_or_b32 exec_lo, exec_lo, s3
.LBB9_5:
	s_delay_alu instid0(SALU_CYCLE_1)
	s_or_b32 exec_lo, exec_lo, s12
	v_cmp_gt_i32_e64 s2, s8, v0
	s_cbranch_execz .LBB9_7
	s_branch .LBB9_12
.LBB9_6:
                                        ; implicit-def: $vgpr3
	v_cmp_gt_i32_e64 s2, s8, v0
.LBB9_7:
	v_mov_b32_e32 v3, 0
	s_delay_alu instid0(VALU_DEP_2)
	s_and_saveexec_b32 s3, s2
	s_cbranch_execz .LBB9_11
; %bb.8:
	v_dual_mov_b32 v4, v0 :: v_dual_lshlrev_b32 v1, 2, v0
	s_add_u32 s2, s4, s6
	s_addc_u32 s4, s5, s7
	v_mov_b32_e32 v3, 0
	s_delay_alu instid0(VALU_DEP_2) | instskip(NEXT) | instid1(VALU_DEP_1)
	v_add_co_u32 v1, s2, s2, v1
	v_add_co_ci_u32_e64 v2, null, s4, 0, s2
	s_mov_b32 s4, 0
	s_lshl_b32 s5, s11, 2
.LBB9_9:                                ; =>This Inner Loop Header: Depth=1
	global_load_b32 v5, v[1:2], off
	v_add_nc_u32_e32 v4, s11, v4
	v_add_co_u32 v1, vcc_lo, v1, s5
	v_add_co_ci_u32_e32 v2, vcc_lo, 0, v2, vcc_lo
	s_waitcnt vmcnt(0)
	v_fmac_f32_e32 v3, v5, v5
	v_cmp_le_i32_e64 s2, s8, v4
	s_delay_alu instid0(VALU_DEP_1) | instskip(NEXT) | instid1(SALU_CYCLE_1)
	s_or_b32 s4, s2, s4
	s_and_not1_b32 exec_lo, exec_lo, s4
	s_cbranch_execnz .LBB9_9
; %bb.10:
	s_or_b32 exec_lo, exec_lo, s4
.LBB9_11:
	s_delay_alu instid0(SALU_CYCLE_1)
	s_or_b32 exec_lo, exec_lo, s3
.LBB9_12:
	v_mbcnt_lo_u32_b32 v1, -1, 0
	s_mov_b32 s2, exec_lo
	s_delay_alu instid0(VALU_DEP_1) | instskip(SKIP_2) | instid1(VALU_DEP_2)
	v_cmp_ne_u32_e32 vcc_lo, 31, v1
	v_add_co_ci_u32_e32 v2, vcc_lo, 0, v1, vcc_lo
	v_cmp_gt_u32_e32 vcc_lo, 30, v1
	v_lshlrev_b32_e32 v2, 2, v2
	v_cndmask_b32_e64 v6, 0, 1, vcc_lo
	ds_bpermute_b32 v5, v2, v3
	s_waitcnt lgkmcnt(0)
	v_dual_add_f32 v7, v3, v5 :: v_dual_and_b32 v4, 0x3e0, v0
	s_delay_alu instid0(VALU_DEP_1) | instskip(SKIP_1) | instid1(VALU_DEP_1)
	v_sub_nc_u32_e64 v12, s11, v4 clamp
	v_add_nc_u32_e32 v4, 1, v1
	v_cmp_lt_u32_e32 vcc_lo, v4, v12
	s_delay_alu instid0(VALU_DEP_4) | instskip(SKIP_2) | instid1(VALU_DEP_1)
	v_cndmask_b32_e32 v7, v3, v7, vcc_lo
	v_cmp_gt_u32_e32 vcc_lo, 28, v1
	v_cndmask_b32_e64 v3, 0, 1, vcc_lo
	v_lshlrev_b32_e32 v8, 2, v3
	v_add_nc_u32_e32 v3, 2, v1
	s_delay_alu instid0(VALU_DEP_1) | instskip(SKIP_1) | instid1(VALU_DEP_1)
	v_cmp_lt_u32_e32 vcc_lo, v3, v12
	v_lshlrev_b32_e32 v6, 1, v6
	v_add_lshl_u32 v5, v6, v1, 2
	ds_bpermute_b32 v6, v5, v7
	s_waitcnt lgkmcnt(0)
	v_add_f32_e32 v9, v7, v6
	v_add_lshl_u32 v6, v8, v1, 2
	s_delay_alu instid0(VALU_DEP_2) | instskip(SKIP_3) | instid1(VALU_DEP_1)
	v_cndmask_b32_e32 v9, v7, v9, vcc_lo
	v_cmp_gt_u32_e32 vcc_lo, 24, v1
	ds_bpermute_b32 v8, v6, v9
	v_cndmask_b32_e64 v7, 0, 1, vcc_lo
	v_lshlrev_b32_e32 v10, 3, v7
	v_add_nc_u32_e32 v7, 4, v1
	s_delay_alu instid0(VALU_DEP_1) | instskip(SKIP_3) | instid1(VALU_DEP_2)
	v_cmp_lt_u32_e32 vcc_lo, v7, v12
	s_waitcnt lgkmcnt(0)
	v_add_f32_e32 v11, v9, v8
	v_add_lshl_u32 v8, v10, v1, 2
	v_cndmask_b32_e32 v11, v9, v11, vcc_lo
	v_cmp_gt_u32_e32 vcc_lo, 16, v1
	ds_bpermute_b32 v10, v8, v11
	v_cndmask_b32_e64 v9, 0, 1, vcc_lo
	s_delay_alu instid0(VALU_DEP_1) | instskip(SKIP_1) | instid1(VALU_DEP_1)
	v_lshlrev_b32_e32 v13, 4, v9
	v_add_nc_u32_e32 v9, 8, v1
	v_cmp_lt_u32_e32 vcc_lo, v9, v12
	s_waitcnt lgkmcnt(0)
	v_add_f32_e32 v14, v11, v10
	v_add_lshl_u32 v10, v13, v1, 2
	s_delay_alu instid0(VALU_DEP_2)
	v_cndmask_b32_e32 v13, v11, v14, vcc_lo
	v_add_nc_u32_e32 v11, 16, v1
	ds_bpermute_b32 v14, v10, v13
	v_cmp_lt_u32_e32 vcc_lo, v11, v12
	s_waitcnt lgkmcnt(0)
	v_add_f32_e32 v14, v13, v14
	s_delay_alu instid0(VALU_DEP_1)
	v_cndmask_b32_e32 v12, v13, v14, vcc_lo
	v_cmpx_eq_u32_e32 0, v1
	s_cbranch_execz .LBB9_14
; %bb.13:
	v_lshrrev_b32_e32 v13, 3, v0
	s_delay_alu instid0(VALU_DEP_1)
	v_and_b32_e32 v13, 0x7c, v13
	ds_store_b32 v13, v12
.LBB9_14:
	s_or_b32 exec_lo, exec_lo, s2
	s_delay_alu instid0(SALU_CYCLE_1)
	s_mov_b32 s2, exec_lo
	s_waitcnt lgkmcnt(0)
	s_barrier
	buffer_gl0_inv
	v_cmpx_gt_u32_e32 32, v0
	s_cbranch_execz .LBB9_16
; %bb.15:
	v_lshlrev_b32_e32 v1, 2, v1
	s_add_i32 s3, s11, 31
	s_delay_alu instid0(SALU_CYCLE_1) | instskip(NEXT) | instid1(SALU_CYCLE_1)
	s_lshr_b32 s3, s3, 5
	v_cmp_gt_u32_e32 vcc_lo, s3, v4
	ds_load_b32 v1, v1
	s_waitcnt lgkmcnt(0)
	ds_bpermute_b32 v2, v2, v1
	s_waitcnt lgkmcnt(0)
	v_add_f32_e32 v2, v1, v2
	s_delay_alu instid0(VALU_DEP_1) | instskip(SKIP_4) | instid1(VALU_DEP_1)
	v_cndmask_b32_e32 v1, v1, v2, vcc_lo
	v_cmp_gt_u32_e32 vcc_lo, s3, v3
	ds_bpermute_b32 v2, v5, v1
	s_waitcnt lgkmcnt(0)
	v_add_f32_e32 v2, v1, v2
	v_cndmask_b32_e32 v1, v1, v2, vcc_lo
	v_cmp_gt_u32_e32 vcc_lo, s3, v7
	ds_bpermute_b32 v2, v6, v1
	s_waitcnt lgkmcnt(0)
	v_add_f32_e32 v2, v1, v2
	s_delay_alu instid0(VALU_DEP_1) | instskip(SKIP_4) | instid1(VALU_DEP_1)
	v_cndmask_b32_e32 v1, v1, v2, vcc_lo
	v_cmp_gt_u32_e32 vcc_lo, s3, v9
	ds_bpermute_b32 v2, v8, v1
	s_waitcnt lgkmcnt(0)
	v_add_f32_e32 v2, v1, v2
	v_cndmask_b32_e32 v1, v1, v2, vcc_lo
	v_cmp_gt_u32_e32 vcc_lo, s3, v11
	ds_bpermute_b32 v2, v10, v1
	s_waitcnt lgkmcnt(0)
	v_add_f32_e32 v2, v1, v2
	s_delay_alu instid0(VALU_DEP_1)
	v_cndmask_b32_e32 v12, v1, v2, vcc_lo
.LBB9_16:
	s_or_b32 exec_lo, exec_lo, s2
	s_delay_alu instid0(SALU_CYCLE_1)
	s_mov_b32 s2, exec_lo
	v_cmpx_eq_u32_e32 0, v0
	s_cbranch_execz .LBB9_18
; %bb.17:
	v_cvt_f32_i32_e32 v1, s8
	s_load_b32 s3, s[0:1], 0x28
	s_delay_alu instid0(VALU_DEP_1) | instskip(SKIP_1) | instid1(VALU_DEP_2)
	v_div_scale_f32 v2, null, v1, v1, v12
	v_div_scale_f32 v5, vcc_lo, v12, v1, v12
	v_rcp_f32_e32 v3, v2
	s_waitcnt_depctr 0xfff
	v_fma_f32 v4, -v2, v3, 1.0
	s_delay_alu instid0(VALU_DEP_1) | instskip(NEXT) | instid1(VALU_DEP_1)
	v_fmac_f32_e32 v3, v4, v3
	v_mul_f32_e32 v4, v5, v3
	s_delay_alu instid0(VALU_DEP_1) | instskip(NEXT) | instid1(VALU_DEP_1)
	v_fma_f32 v6, -v2, v4, v5
	v_fmac_f32_e32 v4, v6, v3
	s_delay_alu instid0(VALU_DEP_1) | instskip(NEXT) | instid1(VALU_DEP_1)
	v_fma_f32 v2, -v2, v4, v5
	v_div_fmas_f32 v2, v2, v3, v4
	s_delay_alu instid0(VALU_DEP_1) | instskip(SKIP_1) | instid1(VALU_DEP_1)
	v_div_fixup_f32 v1, v2, v1, v12
	s_waitcnt lgkmcnt(0)
	v_add_f32_e32 v1, s3, v1
	s_delay_alu instid0(VALU_DEP_1) | instskip(SKIP_1) | instid1(VALU_DEP_2)
	v_mul_f32_e32 v2, 0x4b800000, v1
	v_cmp_gt_f32_e32 vcc_lo, 0x800000, v1
	v_cndmask_b32_e32 v1, v1, v2, vcc_lo
	s_delay_alu instid0(VALU_DEP_1) | instskip(SKIP_2) | instid1(VALU_DEP_1)
	v_rsq_f32_e32 v1, v1
	s_waitcnt_depctr 0xfff
	v_mul_f32_e32 v2, 0x45800000, v1
	v_dual_cndmask_b32 v1, v1, v2 :: v_dual_mov_b32 v2, 0
	ds_store_b32 v2, v1 offset:128
.LBB9_18:
	s_or_b32 exec_lo, exec_lo, s2
	s_waitcnt lgkmcnt(0)
	s_barrier
	buffer_gl0_inv
	s_mov_b32 s2, exec_lo
	v_cmpx_gt_i32_e64 s8, v0
	s_cbranch_execz .LBB9_31
; %bb.19:
	s_clause 0x1
	s_load_b128 s[4:7], s[0:1], 0x18
	s_load_b64 s[2:3], s[0:1], 0x0
	s_mul_i32 s15, s15, s8
	s_waitcnt lgkmcnt(0)
	s_load_b32 s6, s[6:7], 0x0
	s_mov_b32 s7, 0x43600000
	s_waitcnt lgkmcnt(0)
	v_div_scale_f32 v1, null, s6, s6, 1.0
	v_div_scale_f32 v4, vcc_lo, 1.0, s6, 1.0
	s_delay_alu instid0(VALU_DEP_2) | instskip(SKIP_2) | instid1(VALU_DEP_1)
	v_rcp_f32_e32 v3, v1
	s_waitcnt_depctr 0xfff
	v_fma_f32 v2, -v1, v3, 1.0
	v_dual_fmac_f32 v3, v2, v3 :: v_dual_mov_b32 v2, 0
	s_delay_alu instid0(VALU_DEP_1) | instskip(NEXT) | instid1(VALU_DEP_1)
	v_mul_f32_e32 v6, v4, v3
	v_fma_f32 v5, -v1, v6, v4
	s_delay_alu instid0(VALU_DEP_1) | instskip(SKIP_2) | instid1(VALU_DEP_1)
	v_fmac_f32_e32 v6, v5, v3
	ds_load_b32 v5, v2 offset:128
	v_fma_f32 v1, -v1, v6, v4
	v_div_fmas_f32 v1, v1, v3, v6
	s_delay_alu instid0(VALU_DEP_1)
	v_div_fixup_f32 v6, v1, s6, 1.0
	s_mov_b32 s6, 0
	s_branch .LBB9_24
.LBB9_20:                               ;   in Loop: Header=BB9_24 Depth=1
	s_or_b32 exec_lo, exec_lo, s0
	s_delay_alu instid0(VALU_DEP_2) | instskip(NEXT) | instid1(VALU_DEP_2)
	v_lshrrev_b64 v[3:4], 20, v[3:4]
	v_cmp_gt_i32_e32 vcc_lo, 16, v1
	v_and_b32_e32 v7, 0x80, v7
	v_min_i32_e32 v8, 15, v1
	v_cmp_eq_u32_e64 s0, 0, v1
	v_dual_cndmask_b32 v4, 0, v4 :: v_dual_cndmask_b32 v3, 7, v3
	s_delay_alu instid0(VALU_DEP_3) | instskip(NEXT) | instid1(VALU_DEP_2)
	v_lshl_or_b32 v7, v8, 3, v7
	v_cmp_eq_u64_e32 vcc_lo, 0, v[3:4]
	s_delay_alu instid0(VALU_DEP_2)
	v_and_or_b32 v1, v3, 7, v7
	s_and_b32 s0, s0, vcc_lo
	s_delay_alu instid0(VALU_DEP_1) | instid1(SALU_CYCLE_1)
	v_cndmask_b32_e64 v3, v1, 0, s0
.LBB9_21:                               ;   in Loop: Header=BB9_24 Depth=1
	s_or_b32 exec_lo, exec_lo, s14
.LBB9_22:                               ;   in Loop: Header=BB9_24 Depth=1
	s_and_not1_saveexec_b32 s0, s13
	s_delay_alu instid0(SALU_CYCLE_1)
	s_or_b32 exec_lo, exec_lo, s0
.LBB9_23:                               ;   in Loop: Header=BB9_24 Depth=1
	s_and_not1_saveexec_b32 s0, s12
	s_delay_alu instid0(SALU_CYCLE_1)
	s_or_b32 exec_lo, exec_lo, s0
	v_add_nc_u32_e32 v1, s15, v0
	v_add_nc_u32_e32 v0, s11, v0
	global_store_b8 v1, v3, s[2:3]
	v_cmp_le_i32_e32 vcc_lo, s8, v0
	s_or_b32 s6, vcc_lo, s6
	s_delay_alu instid0(SALU_CYCLE_1)
	s_and_not1_b32 exec_lo, exec_lo, s6
	s_cbranch_execz .LBB9_31
.LBB9_24:                               ; =>This Inner Loop Header: Depth=1
	v_ashrrev_i32_e32 v1, 31, v0
	s_mov_b32 s0, exec_lo
	s_delay_alu instid0(VALU_DEP_1) | instskip(NEXT) | instid1(VALU_DEP_1)
	v_lshlrev_b64 v[3:4], 2, v[0:1]
	v_add_co_u32 v7, vcc_lo, s9, v3
	s_delay_alu instid0(VALU_DEP_2)
	v_add_co_ci_u32_e32 v8, vcc_lo, s10, v4, vcc_lo
	v_add_co_u32 v3, vcc_lo, s4, v3
	v_add_co_ci_u32_e32 v4, vcc_lo, s5, v4, vcc_lo
	global_load_b32 v1, v[7:8], off
	global_load_b32 v3, v[3:4], off
	s_waitcnt vmcnt(1) lgkmcnt(0)
	v_mul_f32_e32 v1, v1, v5
	s_waitcnt vmcnt(0)
	s_delay_alu instid0(VALU_DEP_1) | instskip(NEXT) | instid1(VALU_DEP_1)
	v_mul_f32_e32 v1, v3, v1
	v_mul_f32_e32 v1, v6, v1
	s_delay_alu instid0(VALU_DEP_1) | instskip(NEXT) | instid1(VALU_DEP_1)
	v_minmax_f32 v4, v1, s7, 0xc3600000
	v_lshrrev_b32_e32 v7, 24, v4
	v_and_b32_e32 v1, 0x7f800000, v4
	s_delay_alu instid0(VALU_DEP_2) | instskip(NEXT) | instid1(VALU_DEP_2)
	v_or_b32_e32 v3, 0x7f, v7
	v_cmpx_ne_u64_e32 0x7f800000, v[1:2]
	s_xor_b32 s12, exec_lo, s0
	s_cbranch_execz .LBB9_23
; %bb.25:                               ;   in Loop: Header=BB9_24 Depth=1
	v_and_b32_e32 v1, 0x7fffffff, v4
	s_mov_b32 s0, exec_lo
	s_delay_alu instid0(VALU_DEP_1)
	v_cmpx_gt_u64_e32 0x43700001, v[1:2]
	s_xor_b32 s13, exec_lo, s0
	s_cbranch_execz .LBB9_22
; %bb.26:                               ;   in Loop: Header=BB9_24 Depth=1
	v_mov_b32_e32 v3, 0
	s_mov_b32 s14, exec_lo
	v_cmpx_ne_u32_e32 0, v4
	s_cbranch_execz .LBB9_21
; %bb.27:                               ;   in Loop: Header=BB9_24 Depth=1
	v_bfe_u32 v12, v4, 23, 8
	v_and_b32_e32 v3, 0x7fffff, v4
	s_delay_alu instid0(VALU_DEP_2) | instskip(SKIP_2) | instid1(VALU_DEP_3)
	v_sub_nc_u32_e64 v1, 0x78, v12 clamp
	v_cmp_eq_u32_e32 vcc_lo, 0, v12
	v_add_nc_u32_e32 v12, 0xffffff89, v12
	v_cndmask_b32_e64 v13, v1, 0x77, vcc_lo
	v_or_b32_e32 v1, 0x800000, v3
	s_delay_alu instid0(VALU_DEP_1) | instskip(SKIP_1) | instid1(VALU_DEP_2)
	v_dual_cndmask_b32 v1, v1, v3 :: v_dual_add_nc_u32 v4, 20, v13
	v_add_nc_u32_e32 v8, 19, v13
	v_lshlrev_b64 v[3:4], v4, -1
	s_delay_alu instid0(VALU_DEP_3) | instskip(NEXT) | instid1(VALU_DEP_3)
	v_lshrrev_b64 v[10:11], v13, v[1:2]
	v_lshlrev_b64 v[8:9], v8, 1
	v_mov_b32_e32 v4, v2
	s_delay_alu instid0(VALU_DEP_4) | instskip(NEXT) | instid1(VALU_DEP_1)
	v_not_b32_e32 v3, v3
	v_and_b32_e32 v3, v1, v3
	v_and_b32_e32 v1, 0x100000, v10
	s_delay_alu instid0(VALU_DEP_2) | instskip(NEXT) | instid1(VALU_DEP_2)
	v_cmp_eq_u64_e64 s0, v[3:4], v[8:9]
	v_cmp_eq_u64_e64 s1, 0, v[1:2]
	v_cndmask_b32_e64 v1, v12, 0xffffff8a, vcc_lo
	v_lshrrev_b32_e32 v3, 23, v10
	s_delay_alu instid0(VALU_DEP_3) | instskip(NEXT) | instid1(VALU_DEP_1)
	s_and_b32 vcc_lo, s1, s0
	v_add3_u32 v8, v1, v13, v3
	v_subrev_co_ci_u32_e32 v4, vcc_lo, 0, v10, vcc_lo
	s_mov_b32 s0, exec_lo
	s_delay_alu instid0(VALU_DEP_2) | instskip(NEXT) | instid1(VALU_DEP_2)
	v_add_nc_u32_e32 v9, -1, v8
	v_and_b32_e32 v1, 0xfffff, v4
	s_delay_alu instid0(VALU_DEP_1) | instskip(SKIP_1) | instid1(VALU_DEP_4)
	v_add_co_u32 v3, vcc_lo, v1, v10
	v_add_co_ci_u32_e32 v4, vcc_lo, 0, v11, vcc_lo
                                        ; implicit-def: $vgpr1
	v_cmpx_ne_u32_e32 0, v9
	s_xor_b32 s0, exec_lo, s0
; %bb.28:                               ;   in Loop: Header=BB9_24 Depth=1
	s_delay_alu instid0(VALU_DEP_3) | instskip(SKIP_1) | instid1(VALU_DEP_2)
	v_and_b32_e32 v1, 0x1000000, v3
	v_bfe_u32 v10, v3, 24, 1
	v_cmp_eq_u64_e32 vcc_lo, 0, v[1:2]
	s_delay_alu instid0(VALU_DEP_2)
	v_lshrrev_b64 v[3:4], v10, v[3:4]
	v_cndmask_b32_e32 v1, v8, v9, vcc_lo
; %bb.29:                               ;   in Loop: Header=BB9_24 Depth=1
	s_and_not1_saveexec_b32 s0, s0
	s_cbranch_execz .LBB9_20
; %bb.30:                               ;   in Loop: Header=BB9_24 Depth=1
	s_delay_alu instid0(VALU_DEP_2)
	v_bfe_u32 v1, v3, 23, 1
	s_branch .LBB9_20
.LBB9_31:
	s_nop 0
	s_sendmsg sendmsg(MSG_DEALLOC_VGPRS)
	s_endpgm
	.section	.rodata,"a",@progbits
	.p2align	6, 0x0
	.amdhsa_kernel _ZN4vllm32rms_norm_static_fp8_quant_kernelIfN3c1015Float8_e4m3fnuzELi1EEEvPT0_PKT_iS7_PKffii
		.amdhsa_group_segment_fixed_size 132
		.amdhsa_private_segment_fixed_size 0
		.amdhsa_kernarg_size 312
		.amdhsa_user_sgpr_count 15
		.amdhsa_user_sgpr_dispatch_ptr 0
		.amdhsa_user_sgpr_queue_ptr 0
		.amdhsa_user_sgpr_kernarg_segment_ptr 1
		.amdhsa_user_sgpr_dispatch_id 0
		.amdhsa_user_sgpr_private_segment_size 0
		.amdhsa_wavefront_size32 1
		.amdhsa_uses_dynamic_stack 0
		.amdhsa_enable_private_segment 0
		.amdhsa_system_sgpr_workgroup_id_x 1
		.amdhsa_system_sgpr_workgroup_id_y 0
		.amdhsa_system_sgpr_workgroup_id_z 0
		.amdhsa_system_sgpr_workgroup_info 0
		.amdhsa_system_vgpr_workitem_id 0
		.amdhsa_next_free_vgpr 15
		.amdhsa_next_free_sgpr 17
		.amdhsa_reserve_vcc 1
		.amdhsa_float_round_mode_32 0
		.amdhsa_float_round_mode_16_64 0
		.amdhsa_float_denorm_mode_32 3
		.amdhsa_float_denorm_mode_16_64 3
		.amdhsa_dx10_clamp 1
		.amdhsa_ieee_mode 1
		.amdhsa_fp16_overflow 0
		.amdhsa_workgroup_processor_mode 1
		.amdhsa_memory_ordered 1
		.amdhsa_forward_progress 0
		.amdhsa_shared_vgpr_count 0
		.amdhsa_exception_fp_ieee_invalid_op 0
		.amdhsa_exception_fp_denorm_src 0
		.amdhsa_exception_fp_ieee_div_zero 0
		.amdhsa_exception_fp_ieee_overflow 0
		.amdhsa_exception_fp_ieee_underflow 0
		.amdhsa_exception_fp_ieee_inexact 0
		.amdhsa_exception_int_div_zero 0
	.end_amdhsa_kernel
	.section	.text._ZN4vllm32rms_norm_static_fp8_quant_kernelIfN3c1015Float8_e4m3fnuzELi1EEEvPT0_PKT_iS7_PKffii,"axG",@progbits,_ZN4vllm32rms_norm_static_fp8_quant_kernelIfN3c1015Float8_e4m3fnuzELi1EEEvPT0_PKT_iS7_PKffii,comdat
.Lfunc_end9:
	.size	_ZN4vllm32rms_norm_static_fp8_quant_kernelIfN3c1015Float8_e4m3fnuzELi1EEEvPT0_PKT_iS7_PKffii, .Lfunc_end9-_ZN4vllm32rms_norm_static_fp8_quant_kernelIfN3c1015Float8_e4m3fnuzELi1EEEvPT0_PKT_iS7_PKffii
                                        ; -- End function
	.section	.AMDGPU.csdata,"",@progbits
; Kernel info:
; codeLenInByte = 1992
; NumSgprs: 19
; NumVgprs: 15
; ScratchSize: 0
; MemoryBound: 0
; FloatMode: 240
; IeeeMode: 1
; LDSByteSize: 132 bytes/workgroup (compile time only)
; SGPRBlocks: 2
; VGPRBlocks: 1
; NumSGPRsForWavesPerEU: 19
; NumVGPRsForWavesPerEU: 15
; Occupancy: 16
; WaveLimiterHint : 0
; COMPUTE_PGM_RSRC2:SCRATCH_EN: 0
; COMPUTE_PGM_RSRC2:USER_SGPR: 15
; COMPUTE_PGM_RSRC2:TRAP_HANDLER: 0
; COMPUTE_PGM_RSRC2:TGID_X_EN: 1
; COMPUTE_PGM_RSRC2:TGID_Y_EN: 0
; COMPUTE_PGM_RSRC2:TGID_Z_EN: 0
; COMPUTE_PGM_RSRC2:TIDIG_COMP_CNT: 0
	.section	.text._ZN4vllm32rms_norm_static_fp8_quant_kernelIN3c104HalfENS1_13Float8_e4m3fnELi16EEEvPT0_PKT_iS8_PKffii,"axG",@progbits,_ZN4vllm32rms_norm_static_fp8_quant_kernelIN3c104HalfENS1_13Float8_e4m3fnELi16EEEvPT0_PKT_iS8_PKffii,comdat
	.protected	_ZN4vllm32rms_norm_static_fp8_quant_kernelIN3c104HalfENS1_13Float8_e4m3fnELi16EEEvPT0_PKT_iS8_PKffii ; -- Begin function _ZN4vllm32rms_norm_static_fp8_quant_kernelIN3c104HalfENS1_13Float8_e4m3fnELi16EEEvPT0_PKT_iS8_PKffii
	.globl	_ZN4vllm32rms_norm_static_fp8_quant_kernelIN3c104HalfENS1_13Float8_e4m3fnELi16EEEvPT0_PKT_iS8_PKffii
	.p2align	8
	.type	_ZN4vllm32rms_norm_static_fp8_quant_kernelIN3c104HalfENS1_13Float8_e4m3fnELi16EEEvPT0_PKT_iS8_PKffii,@function
_ZN4vllm32rms_norm_static_fp8_quant_kernelIN3c104HalfENS1_13Float8_e4m3fnELi16EEEvPT0_PKT_iS8_PKffii: ; @_ZN4vllm32rms_norm_static_fp8_quant_kernelIN3c104HalfENS1_13Float8_e4m3fnELi16EEEvPT0_PKT_iS8_PKffii
; %bb.0:
	s_clause 0x3
	s_load_b32 s2, s[0:1], 0x10
	s_load_b64 s[4:5], s[0:1], 0x8
	s_load_b32 s8, s[0:1], 0x44
	s_load_b32 s13, s[0:1], 0x30
	s_mov_b32 s3, 0
	s_waitcnt lgkmcnt(0)
	s_mul_i32 s2, s15, s2
	s_delay_alu instid0(SALU_CYCLE_1) | instskip(NEXT) | instid1(SALU_CYCLE_1)
	s_lshl_b64 s[6:7], s[2:3], 1
	s_add_u32 s10, s4, s6
	s_addc_u32 s11, s5, s7
	s_and_b32 s2, s10, 31
	s_and_b32 s12, s8, 0xffff
	s_cmp_lg_u64 s[2:3], 0
	s_cselect_b32 s2, -1, 0
	s_and_b32 s3, s13, 15
	s_delay_alu instid0(SALU_CYCLE_1) | instskip(SKIP_1) | instid1(SALU_CYCLE_1)
	s_cmp_lg_u32 s3, 0
	s_cselect_b32 s3, -1, 0
	s_or_b32 s2, s2, s3
	s_delay_alu instid0(SALU_CYCLE_1)
	s_and_b32 vcc_lo, exec_lo, s2
	s_cbranch_vccz .LBB10_14
; %bb.1:
	s_sub_i32 s2, 0, s10
	v_mov_b32_e32 v4, 0
	s_bfe_u32 s2, s2, 0x40001
	s_mov_b32 s3, exec_lo
	s_min_i32 s8, s2, s13
	s_delay_alu instid0(SALU_CYCLE_1)
	v_cmpx_gt_i32_e64 s8, v0
	s_cbranch_execz .LBB10_5
; %bb.2:
	v_dual_mov_b32 v4, 0 :: v_dual_lshlrev_b32 v1, 1, v0
	s_add_u32 s2, s4, s6
	s_addc_u32 s9, s5, s7
	v_mov_b32_e32 v3, v0
	s_delay_alu instid0(VALU_DEP_2) | instskip(NEXT) | instid1(VALU_DEP_1)
	v_add_co_u32 v1, s2, s2, v1
	v_add_co_ci_u32_e64 v2, null, s9, 0, s2
	s_mov_b32 s9, 0
	s_lshl_b32 s14, s12, 1
.LBB10_3:                               ; =>This Inner Loop Header: Depth=1
	global_load_u16 v5, v[1:2], off
	v_add_nc_u32_e32 v3, s12, v3
	v_add_co_u32 v1, vcc_lo, v1, s14
	v_add_co_ci_u32_e32 v2, vcc_lo, 0, v2, vcc_lo
	s_delay_alu instid0(VALU_DEP_3) | instskip(NEXT) | instid1(VALU_DEP_1)
	v_cmp_le_i32_e64 s2, s8, v3
	s_or_b32 s9, s2, s9
	s_waitcnt vmcnt(0)
	v_fma_mix_f32 v4, v5, v5, v4 op_sel_hi:[1,1,0]
	s_and_not1_b32 exec_lo, exec_lo, s9
	s_cbranch_execnz .LBB10_3
; %bb.4:
	s_or_b32 exec_lo, exec_lo, s9
.LBB10_5:
	s_delay_alu instid0(SALU_CYCLE_1)
	s_or_b32 exec_lo, exec_lo, s3
	s_sub_i32 s3, s13, s8
	s_ashr_i32 s9, s8, 31
	s_ashr_i32 s2, s3, 31
	s_mov_b32 s16, exec_lo
	s_lshr_b32 s2, s2, 28
	s_delay_alu instid0(SALU_CYCLE_1) | instskip(NEXT) | instid1(SALU_CYCLE_1)
	s_add_i32 s2, s3, s2
	s_ashr_i32 s14, s2, 4
	s_delay_alu instid0(SALU_CYCLE_1)
	v_cmpx_gt_i32_e64 s14, v0
	s_cbranch_execz .LBB10_9
; %bb.6:
	v_lshlrev_b32_e32 v1, 5, v0
	s_lshl_b64 s[18:19], s[8:9], 1
	s_add_u32 s2, s4, s6
	s_addc_u32 s17, s5, s7
	s_add_u32 s2, s2, s18
	s_addc_u32 s17, s17, s19
	v_add_co_u32 v1, s2, s2, v1
	s_delay_alu instid0(VALU_DEP_1)
	v_add_co_ci_u32_e64 v2, null, s17, 0, s2
	v_mov_b32_e32 v3, v0
	s_mov_b32 s17, 0
	s_lshl_b32 s18, s12, 5
	s_set_inst_prefetch_distance 0x1
	.p2align	6
.LBB10_7:                               ; =>This Inner Loop Header: Depth=1
	s_clause 0x1
	global_load_b128 v[5:8], v[1:2], off
	global_load_b128 v[9:12], v[1:2], off offset:16
	v_add_nc_u32_e32 v3, s12, v3
	v_add_co_u32 v1, vcc_lo, v1, s18
	v_add_co_ci_u32_e32 v2, vcc_lo, 0, v2, vcc_lo
	s_delay_alu instid0(VALU_DEP_3) | instskip(NEXT) | instid1(VALU_DEP_1)
	v_cmp_le_i32_e64 s2, s14, v3
	s_or_b32 s17, s2, s17
	s_waitcnt vmcnt(1)
	v_fma_mix_f32 v4, v5, v5, v4 op_sel_hi:[1,1,0]
	s_delay_alu instid0(VALU_DEP_1) | instskip(NEXT) | instid1(VALU_DEP_1)
	v_fma_mix_f32 v4, v5, v5, v4 op_sel:[1,1,0] op_sel_hi:[1,1,0]
	v_fma_mix_f32 v4, v6, v6, v4 op_sel_hi:[1,1,0]
	s_delay_alu instid0(VALU_DEP_1) | instskip(NEXT) | instid1(VALU_DEP_1)
	v_fma_mix_f32 v4, v6, v6, v4 op_sel:[1,1,0] op_sel_hi:[1,1,0]
	;; [unrolled: 3-line block ×3, first 2 shown]
	v_fma_mix_f32 v4, v8, v8, v4 op_sel_hi:[1,1,0]
	s_delay_alu instid0(VALU_DEP_1) | instskip(SKIP_1) | instid1(VALU_DEP_1)
	v_fma_mix_f32 v4, v8, v8, v4 op_sel:[1,1,0] op_sel_hi:[1,1,0]
	s_waitcnt vmcnt(0)
	v_fma_mix_f32 v4, v9, v9, v4 op_sel_hi:[1,1,0]
	s_delay_alu instid0(VALU_DEP_1) | instskip(NEXT) | instid1(VALU_DEP_1)
	v_fma_mix_f32 v4, v9, v9, v4 op_sel:[1,1,0] op_sel_hi:[1,1,0]
	v_fma_mix_f32 v4, v10, v10, v4 op_sel_hi:[1,1,0]
	s_delay_alu instid0(VALU_DEP_1) | instskip(NEXT) | instid1(VALU_DEP_1)
	v_fma_mix_f32 v4, v10, v10, v4 op_sel:[1,1,0] op_sel_hi:[1,1,0]
	;; [unrolled: 3-line block ×3, first 2 shown]
	v_fma_mix_f32 v4, v12, v12, v4 op_sel_hi:[1,1,0]
	s_delay_alu instid0(VALU_DEP_1)
	v_fma_mix_f32 v4, v12, v12, v4 op_sel:[1,1,0] op_sel_hi:[1,1,0]
	s_and_not1_b32 exec_lo, exec_lo, s17
	s_cbranch_execnz .LBB10_7
; %bb.8:
	s_set_inst_prefetch_distance 0x2
	s_or_b32 exec_lo, exec_lo, s17
.LBB10_9:
	s_delay_alu instid0(SALU_CYCLE_1) | instskip(SKIP_2) | instid1(VALU_DEP_1)
	s_or_b32 exec_lo, exec_lo, s16
	v_lshl_add_u32 v1, s14, 4, v0
	s_mov_b32 s14, exec_lo
	v_cmpx_gt_i32_e64 s3, v1
	s_cbranch_execz .LBB10_13
; %bb.10:
	v_ashrrev_i32_e32 v2, 31, v1
	s_lshl_b64 s[8:9], s[8:9], 1
	s_add_u32 s2, s4, s6
	s_addc_u32 s16, s5, s7
	s_add_u32 s2, s2, s8
	v_lshlrev_b64 v[2:3], 1, v[1:2]
	s_addc_u32 s8, s16, s9
	s_lshl_b32 s9, s12, 1
	s_delay_alu instid0(VALU_DEP_1) | instskip(NEXT) | instid1(VALU_DEP_2)
	v_add_co_u32 v2, vcc_lo, s2, v2
	v_add_co_ci_u32_e32 v3, vcc_lo, s8, v3, vcc_lo
	s_mov_b32 s8, 0
.LBB10_11:                              ; =>This Inner Loop Header: Depth=1
	global_load_u16 v5, v[2:3], off
	v_add_nc_u32_e32 v1, s12, v1
	v_add_co_u32 v2, vcc_lo, v2, s9
	v_add_co_ci_u32_e32 v3, vcc_lo, 0, v3, vcc_lo
	s_delay_alu instid0(VALU_DEP_3) | instskip(NEXT) | instid1(VALU_DEP_1)
	v_cmp_le_i32_e64 s2, s3, v1
	s_or_b32 s8, s2, s8
	s_waitcnt vmcnt(0)
	v_fma_mix_f32 v4, v5, v5, v4 op_sel_hi:[1,1,0]
	s_and_not1_b32 exec_lo, exec_lo, s8
	s_cbranch_execnz .LBB10_11
; %bb.12:
	s_or_b32 exec_lo, exec_lo, s8
.LBB10_13:
	s_delay_alu instid0(SALU_CYCLE_1)
	s_or_b32 exec_lo, exec_lo, s14
	s_branch .LBB10_20
.LBB10_14:
                                        ; implicit-def: $vgpr4
	s_cbranch_execz .LBB10_20
; %bb.15:
	v_mov_b32_e32 v4, 0
	s_ashr_i32 s8, s13, 4
	s_mov_b32 s3, exec_lo
	v_cmpx_gt_i32_e64 s8, v0
	s_cbranch_execz .LBB10_19
; %bb.16:
	v_dual_mov_b32 v4, 0 :: v_dual_lshlrev_b32 v1, 5, v0
	s_add_u32 s2, s4, s6
	s_addc_u32 s4, s5, s7
	v_mov_b32_e32 v3, v0
	s_delay_alu instid0(VALU_DEP_2) | instskip(NEXT) | instid1(VALU_DEP_1)
	v_add_co_u32 v1, s2, s2, v1
	v_add_co_ci_u32_e64 v2, null, s4, 0, s2
	s_mov_b32 s4, 0
	s_lshl_b32 s5, s12, 5
	s_set_inst_prefetch_distance 0x1
	.p2align	6
.LBB10_17:                              ; =>This Inner Loop Header: Depth=1
	s_clause 0x1
	global_load_b128 v[5:8], v[1:2], off
	global_load_b128 v[9:12], v[1:2], off offset:16
	v_add_nc_u32_e32 v3, s12, v3
	v_add_co_u32 v1, vcc_lo, v1, s5
	v_add_co_ci_u32_e32 v2, vcc_lo, 0, v2, vcc_lo
	s_delay_alu instid0(VALU_DEP_3) | instskip(NEXT) | instid1(VALU_DEP_1)
	v_cmp_le_i32_e64 s2, s8, v3
	s_or_b32 s4, s2, s4
	s_waitcnt vmcnt(1)
	v_fma_mix_f32 v4, v5, v5, v4 op_sel_hi:[1,1,0]
	s_delay_alu instid0(VALU_DEP_1) | instskip(NEXT) | instid1(VALU_DEP_1)
	v_fma_mix_f32 v4, v5, v5, v4 op_sel:[1,1,0] op_sel_hi:[1,1,0]
	v_fma_mix_f32 v4, v6, v6, v4 op_sel_hi:[1,1,0]
	s_delay_alu instid0(VALU_DEP_1) | instskip(NEXT) | instid1(VALU_DEP_1)
	v_fma_mix_f32 v4, v6, v6, v4 op_sel:[1,1,0] op_sel_hi:[1,1,0]
	;; [unrolled: 3-line block ×3, first 2 shown]
	v_fma_mix_f32 v4, v8, v8, v4 op_sel_hi:[1,1,0]
	s_delay_alu instid0(VALU_DEP_1) | instskip(SKIP_1) | instid1(VALU_DEP_1)
	v_fma_mix_f32 v4, v8, v8, v4 op_sel:[1,1,0] op_sel_hi:[1,1,0]
	s_waitcnt vmcnt(0)
	v_fma_mix_f32 v4, v9, v9, v4 op_sel_hi:[1,1,0]
	s_delay_alu instid0(VALU_DEP_1) | instskip(NEXT) | instid1(VALU_DEP_1)
	v_fma_mix_f32 v4, v9, v9, v4 op_sel:[1,1,0] op_sel_hi:[1,1,0]
	v_fma_mix_f32 v4, v10, v10, v4 op_sel_hi:[1,1,0]
	s_delay_alu instid0(VALU_DEP_1) | instskip(NEXT) | instid1(VALU_DEP_1)
	v_fma_mix_f32 v4, v10, v10, v4 op_sel:[1,1,0] op_sel_hi:[1,1,0]
	;; [unrolled: 3-line block ×3, first 2 shown]
	v_fma_mix_f32 v4, v12, v12, v4 op_sel_hi:[1,1,0]
	s_delay_alu instid0(VALU_DEP_1)
	v_fma_mix_f32 v4, v12, v12, v4 op_sel:[1,1,0] op_sel_hi:[1,1,0]
	s_and_not1_b32 exec_lo, exec_lo, s4
	s_cbranch_execnz .LBB10_17
; %bb.18:
	s_set_inst_prefetch_distance 0x2
	s_or_b32 exec_lo, exec_lo, s4
.LBB10_19:
	s_delay_alu instid0(SALU_CYCLE_1)
	s_or_b32 exec_lo, exec_lo, s3
.LBB10_20:
	v_mbcnt_lo_u32_b32 v1, -1, 0
	v_and_b32_e32 v3, 0x3e0, v0
	s_mov_b32 s2, exec_lo
	s_delay_alu instid0(VALU_DEP_2) | instskip(NEXT) | instid1(VALU_DEP_2)
	v_cmp_ne_u32_e32 vcc_lo, 31, v1
	v_sub_nc_u32_e64 v12, s12, v3 clamp
	v_add_nc_u32_e32 v3, 1, v1
	v_add_co_ci_u32_e32 v2, vcc_lo, 0, v1, vcc_lo
	v_cmp_gt_u32_e32 vcc_lo, 30, v1
	s_delay_alu instid0(VALU_DEP_2)
	v_lshlrev_b32_e32 v2, 2, v2
	v_cndmask_b32_e64 v6, 0, 1, vcc_lo
	v_cmp_lt_u32_e32 vcc_lo, v3, v12
	ds_bpermute_b32 v5, v2, v4
	s_waitcnt lgkmcnt(0)
	v_dual_add_f32 v7, v4, v5 :: v_dual_lshlrev_b32 v6, 1, v6
	s_delay_alu instid0(VALU_DEP_1) | instskip(NEXT) | instid1(VALU_DEP_2)
	v_cndmask_b32_e32 v7, v4, v7, vcc_lo
	v_add_lshl_u32 v5, v6, v1, 2
	v_cmp_gt_u32_e32 vcc_lo, 28, v1
	ds_bpermute_b32 v6, v5, v7
	v_cndmask_b32_e64 v4, 0, 1, vcc_lo
	s_delay_alu instid0(VALU_DEP_1) | instskip(SKIP_1) | instid1(VALU_DEP_1)
	v_lshlrev_b32_e32 v8, 2, v4
	v_add_nc_u32_e32 v4, 2, v1
	v_cmp_lt_u32_e32 vcc_lo, v4, v12
	s_waitcnt lgkmcnt(0)
	v_add_f32_e32 v9, v7, v6
	v_add_lshl_u32 v6, v8, v1, 2
	s_delay_alu instid0(VALU_DEP_2) | instskip(SKIP_2) | instid1(VALU_DEP_1)
	v_cndmask_b32_e32 v9, v7, v9, vcc_lo
	v_cmp_gt_u32_e32 vcc_lo, 24, v1
	v_cndmask_b32_e64 v7, 0, 1, vcc_lo
	v_lshlrev_b32_e32 v10, 3, v7
	ds_bpermute_b32 v8, v6, v9
	v_add_nc_u32_e32 v7, 4, v1
	s_delay_alu instid0(VALU_DEP_1) | instskip(SKIP_3) | instid1(VALU_DEP_2)
	v_cmp_lt_u32_e32 vcc_lo, v7, v12
	s_waitcnt lgkmcnt(0)
	v_add_f32_e32 v11, v9, v8
	v_add_lshl_u32 v8, v10, v1, 2
	v_cndmask_b32_e32 v11, v9, v11, vcc_lo
	v_cmp_gt_u32_e32 vcc_lo, 16, v1
	ds_bpermute_b32 v10, v8, v11
	v_cndmask_b32_e64 v9, 0, 1, vcc_lo
	s_delay_alu instid0(VALU_DEP_1) | instskip(SKIP_1) | instid1(VALU_DEP_1)
	v_lshlrev_b32_e32 v13, 4, v9
	v_add_nc_u32_e32 v9, 8, v1
	v_cmp_lt_u32_e32 vcc_lo, v9, v12
	s_waitcnt lgkmcnt(0)
	v_add_f32_e32 v14, v11, v10
	v_add_lshl_u32 v10, v13, v1, 2
	s_delay_alu instid0(VALU_DEP_2)
	v_cndmask_b32_e32 v13, v11, v14, vcc_lo
	v_add_nc_u32_e32 v11, 16, v1
	ds_bpermute_b32 v14, v10, v13
	v_cmp_lt_u32_e32 vcc_lo, v11, v12
	s_waitcnt lgkmcnt(0)
	v_add_f32_e32 v14, v13, v14
	s_delay_alu instid0(VALU_DEP_1)
	v_cndmask_b32_e32 v12, v13, v14, vcc_lo
	v_cmpx_eq_u32_e32 0, v1
	s_cbranch_execz .LBB10_22
; %bb.21:
	v_lshrrev_b32_e32 v13, 3, v0
	s_delay_alu instid0(VALU_DEP_1)
	v_and_b32_e32 v13, 0x7c, v13
	ds_store_b32 v13, v12
.LBB10_22:
	s_or_b32 exec_lo, exec_lo, s2
	s_delay_alu instid0(SALU_CYCLE_1)
	s_mov_b32 s2, exec_lo
	s_waitcnt lgkmcnt(0)
	s_barrier
	buffer_gl0_inv
	v_cmpx_gt_u32_e32 32, v0
	s_cbranch_execz .LBB10_24
; %bb.23:
	v_lshlrev_b32_e32 v1, 2, v1
	s_add_i32 s3, s12, 31
	s_delay_alu instid0(SALU_CYCLE_1) | instskip(NEXT) | instid1(SALU_CYCLE_1)
	s_lshr_b32 s3, s3, 5
	v_cmp_gt_u32_e32 vcc_lo, s3, v3
	ds_load_b32 v1, v1
	s_waitcnt lgkmcnt(0)
	ds_bpermute_b32 v2, v2, v1
	s_waitcnt lgkmcnt(0)
	v_add_f32_e32 v2, v1, v2
	s_delay_alu instid0(VALU_DEP_1) | instskip(SKIP_4) | instid1(VALU_DEP_1)
	v_cndmask_b32_e32 v1, v1, v2, vcc_lo
	v_cmp_gt_u32_e32 vcc_lo, s3, v4
	ds_bpermute_b32 v2, v5, v1
	s_waitcnt lgkmcnt(0)
	v_add_f32_e32 v2, v1, v2
	v_cndmask_b32_e32 v1, v1, v2, vcc_lo
	v_cmp_gt_u32_e32 vcc_lo, s3, v7
	ds_bpermute_b32 v2, v6, v1
	s_waitcnt lgkmcnt(0)
	v_add_f32_e32 v2, v1, v2
	s_delay_alu instid0(VALU_DEP_1) | instskip(SKIP_4) | instid1(VALU_DEP_1)
	v_cndmask_b32_e32 v1, v1, v2, vcc_lo
	v_cmp_gt_u32_e32 vcc_lo, s3, v9
	ds_bpermute_b32 v2, v8, v1
	s_waitcnt lgkmcnt(0)
	v_add_f32_e32 v2, v1, v2
	v_cndmask_b32_e32 v1, v1, v2, vcc_lo
	v_cmp_gt_u32_e32 vcc_lo, s3, v11
	ds_bpermute_b32 v2, v10, v1
	s_waitcnt lgkmcnt(0)
	v_add_f32_e32 v2, v1, v2
	s_delay_alu instid0(VALU_DEP_1)
	v_cndmask_b32_e32 v12, v1, v2, vcc_lo
.LBB10_24:
	s_or_b32 exec_lo, exec_lo, s2
	s_delay_alu instid0(SALU_CYCLE_1)
	s_mov_b32 s2, exec_lo
	v_cmpx_eq_u32_e32 0, v0
	s_cbranch_execz .LBB10_26
; %bb.25:
	v_cvt_f32_i32_e32 v1, s13
	s_load_b32 s3, s[0:1], 0x28
	s_delay_alu instid0(VALU_DEP_1) | instskip(SKIP_1) | instid1(VALU_DEP_2)
	v_div_scale_f32 v2, null, v1, v1, v12
	v_div_scale_f32 v5, vcc_lo, v12, v1, v12
	v_rcp_f32_e32 v3, v2
	s_waitcnt_depctr 0xfff
	v_fma_f32 v4, -v2, v3, 1.0
	s_delay_alu instid0(VALU_DEP_1) | instskip(NEXT) | instid1(VALU_DEP_1)
	v_fmac_f32_e32 v3, v4, v3
	v_mul_f32_e32 v4, v5, v3
	s_delay_alu instid0(VALU_DEP_1) | instskip(NEXT) | instid1(VALU_DEP_1)
	v_fma_f32 v6, -v2, v4, v5
	v_fmac_f32_e32 v4, v6, v3
	s_delay_alu instid0(VALU_DEP_1) | instskip(NEXT) | instid1(VALU_DEP_1)
	v_fma_f32 v2, -v2, v4, v5
	v_div_fmas_f32 v2, v2, v3, v4
	s_delay_alu instid0(VALU_DEP_1) | instskip(SKIP_1) | instid1(VALU_DEP_1)
	v_div_fixup_f32 v1, v2, v1, v12
	s_waitcnt lgkmcnt(0)
	v_add_f32_e32 v1, s3, v1
	s_delay_alu instid0(VALU_DEP_1) | instskip(SKIP_1) | instid1(VALU_DEP_2)
	v_mul_f32_e32 v2, 0x4b800000, v1
	v_cmp_gt_f32_e32 vcc_lo, 0x800000, v1
	v_cndmask_b32_e32 v1, v1, v2, vcc_lo
	s_delay_alu instid0(VALU_DEP_1) | instskip(SKIP_2) | instid1(VALU_DEP_1)
	v_rsq_f32_e32 v1, v1
	s_waitcnt_depctr 0xfff
	v_mul_f32_e32 v2, 0x45800000, v1
	v_dual_cndmask_b32 v1, v1, v2 :: v_dual_mov_b32 v2, 0
	ds_store_b32 v2, v1 offset:128
.LBB10_26:
	s_or_b32 exec_lo, exec_lo, s2
	s_ashr_i32 s2, s13, 31
	s_waitcnt lgkmcnt(0)
	s_lshr_b32 s2, s2, 28
	s_barrier
	s_add_i32 s2, s13, s2
	buffer_gl0_inv
	s_ashr_i32 s8, s2, 4
	s_mov_b32 s2, exec_lo
	v_cmpx_gt_i32_e64 s8, v0
	s_cbranch_execz .LBB10_285
; %bb.27:
	s_clause 0x1
	s_load_b128 s[4:7], s[0:1], 0x18
	s_load_b64 s[2:3], s[0:1], 0x0
	s_mul_i32 s15, s15, s13
	s_lshl_b32 s9, s12, 5
	v_lshl_add_u32 v22, v0, 4, s15
	s_mov_b32 s13, 0x43e00000
	v_mov_b32_e32 v18, 0
	v_lshlrev_b32_e32 v24, 5, v0
	ds_load_b32 v21, v18 offset:128
	s_waitcnt lgkmcnt(0)
	s_load_b32 s7, s[6:7], 0x0
	s_lshl_b32 s6, s12, 4
	s_waitcnt lgkmcnt(0)
	v_div_scale_f32 v1, null, s7, s7, 1.0
	v_div_scale_f32 v4, vcc_lo, 1.0, s7, 1.0
	s_delay_alu instid0(VALU_DEP_2) | instskip(SKIP_2) | instid1(VALU_DEP_1)
	v_rcp_f32_e32 v2, v1
	s_waitcnt_depctr 0xfff
	v_fma_f32 v3, -v1, v2, 1.0
	v_fmac_f32_e32 v2, v3, v2
	s_delay_alu instid0(VALU_DEP_1) | instskip(NEXT) | instid1(VALU_DEP_1)
	v_mul_f32_e32 v3, v4, v2
	v_fma_f32 v5, -v1, v3, v4
	s_delay_alu instid0(VALU_DEP_1) | instskip(NEXT) | instid1(VALU_DEP_1)
	v_fmac_f32_e32 v3, v5, v2
	v_fma_f32 v1, -v1, v3, v4
	s_delay_alu instid0(VALU_DEP_1) | instskip(NEXT) | instid1(VALU_DEP_1)
	v_div_fmas_f32 v1, v1, v2, v3
	v_div_fixup_f32 v23, v1, s7, 1.0
	s_mov_b32 s7, 0
	s_branch .LBB10_29
.LBB10_28:                              ;   in Loop: Header=BB10_29 Depth=1
	s_or_b32 exec_lo, exec_lo, s0
	v_add_nc_u32_e32 v0, s12, v0
	s_add_u32 s4, s4, s9
	v_add_nc_u32_e32 v1, 15, v22
	v_add_nc_u32_e32 v22, s6, v22
	s_addc_u32 s5, s5, 0
	v_cmp_le_i32_e32 vcc_lo, s8, v0
	s_add_u32 s10, s10, s9
	s_addc_u32 s11, s11, 0
	global_store_b8 v1, v4, s[2:3]
	s_or_b32 s7, vcc_lo, s7
	s_delay_alu instid0(SALU_CYCLE_1)
	s_and_not1_b32 exec_lo, exec_lo, s7
	s_cbranch_execz .LBB10_285
.LBB10_29:                              ; =>This Inner Loop Header: Depth=1
	v_add_co_u32 v1, s0, s10, v24
	s_delay_alu instid0(VALU_DEP_1) | instskip(SKIP_1) | instid1(VALU_DEP_1)
	v_add_co_ci_u32_e64 v2, null, s11, 0, s0
	v_add_co_u32 v5, s0, s4, v24
	v_add_co_ci_u32_e64 v6, null, s5, 0, s0
	global_load_b128 v[9:12], v[1:2], off
	global_load_b128 v[13:16], v[5:6], off
	global_load_b128 v[1:4], v[1:2], off offset:16
	global_load_b128 v[5:8], v[5:6], off offset:16
	s_mov_b32 s0, exec_lo
	v_mov_b32_e32 v28, v18
	s_waitcnt vmcnt(3)
	v_fma_mixlo_f16 v17, v21, v9, 0 op_sel_hi:[0,1,0]
	s_waitcnt vmcnt(2)
	s_delay_alu instid0(VALU_DEP_1) | instskip(NEXT) | instid1(VALU_DEP_1)
	v_mul_f16_e32 v17, v13, v17
	v_cvt_f32_f16_e32 v17, v17
	s_delay_alu instid0(VALU_DEP_1) | instskip(NEXT) | instid1(VALU_DEP_1)
	v_mul_f32_e32 v17, v23, v17
	v_minmax_f32 v19, v17, s13, 0xc3e00000
	s_delay_alu instid0(VALU_DEP_1) | instskip(SKIP_2) | instid1(VALU_DEP_3)
	v_lshrrev_b32_e32 v26, 24, v19
	v_and_b32_e32 v27, 0x7f800000, v19
	v_and_b32_e32 v17, 0x7fffff, v19
	;; [unrolled: 1-line block ×3, first 2 shown]
	s_delay_alu instid0(VALU_DEP_1) | instskip(NEXT) | instid1(VALU_DEP_4)
	v_or_b32_e32 v20, 0x7e, v25
	v_cmpx_ne_u64_e32 0x7f800000, v[27:28]
	s_xor_b32 s14, exec_lo, s0
	s_cbranch_execz .LBB10_43
; %bb.30:                               ;   in Loop: Header=BB10_29 Depth=1
	v_dual_mov_b32 v27, v18 :: v_dual_and_b32 v26, 0x7fffffff, v19
	s_mov_b32 s0, exec_lo
	s_delay_alu instid0(VALU_DEP_1)
	v_cmpx_gt_u64_e32 0x43e00001, v[26:27]
	s_xor_b32 s15, exec_lo, s0
	s_cbranch_execz .LBB10_42
; %bb.31:                               ;   in Loop: Header=BB10_29 Depth=1
	v_mov_b32_e32 v20, 0
	s_mov_b32 s16, exec_lo
	v_cmpx_ne_u32_e32 0, v19
	s_cbranch_execz .LBB10_41
; %bb.32:                               ;   in Loop: Header=BB10_29 Depth=1
	v_bfe_u32 v30, v19, 23, 8
	s_delay_alu instid0(VALU_DEP_1) | instskip(SKIP_2) | instid1(VALU_DEP_3)
	v_sub_nc_u32_e64 v19, 0x79, v30 clamp
	v_cmp_eq_u32_e32 vcc_lo, 0, v30
	v_add_nc_u32_e32 v30, 0xffffff88, v30
	v_cndmask_b32_e64 v31, v19, 0x78, vcc_lo
	v_or_b32_e32 v19, 0x800000, v17
	s_delay_alu instid0(VALU_DEP_1) | instskip(SKIP_1) | instid1(VALU_DEP_2)
	v_dual_cndmask_b32 v17, v19, v17 :: v_dual_add_nc_u32 v20, 20, v31
	v_add_nc_u32_e32 v26, 19, v31
	v_lshlrev_b64 v[19:20], v20, -1
	s_delay_alu instid0(VALU_DEP_3) | instskip(NEXT) | instid1(VALU_DEP_2)
	v_lshrrev_b64 v[28:29], v31, v[17:18]
	v_not_b32_e32 v27, v20
	s_delay_alu instid0(VALU_DEP_3) | instskip(SKIP_1) | instid1(VALU_DEP_3)
	v_not_b32_e32 v32, v19
	v_lshlrev_b64 v[19:20], v26, 1
	v_and_b32_e32 v27, 0, v27
	s_delay_alu instid0(VALU_DEP_3) | instskip(SKIP_1) | instid1(VALU_DEP_2)
	v_and_b32_e32 v26, v17, v32
	v_and_b32_e32 v17, 0x100000, v28
	v_cmp_eq_u64_e64 s0, v[26:27], v[19:20]
	s_delay_alu instid0(VALU_DEP_2) | instskip(SKIP_2) | instid1(VALU_DEP_3)
	v_cmp_eq_u64_e64 s1, 0, v[17:18]
	v_cndmask_b32_e64 v17, v30, 0xffffff89, vcc_lo
	v_lshrrev_b32_e32 v19, 23, v28
	s_and_b32 vcc_lo, s1, s0
	s_delay_alu instid0(VALU_DEP_1) | instskip(SKIP_2) | instid1(VALU_DEP_2)
	v_add3_u32 v26, v17, v31, v19
	v_subrev_co_ci_u32_e32 v20, vcc_lo, 0, v28, vcc_lo
	s_mov_b32 s0, exec_lo
	v_add_nc_u32_e32 v27, -1, v26
	s_delay_alu instid0(VALU_DEP_2) | instskip(NEXT) | instid1(VALU_DEP_1)
	v_and_b32_e32 v17, 0xfffff, v20
	v_add_co_u32 v19, vcc_lo, v17, v28
	v_add_co_ci_u32_e32 v20, vcc_lo, 0, v29, vcc_lo
                                        ; implicit-def: $vgpr17
	s_delay_alu instid0(VALU_DEP_4)
	v_cmpx_ne_u32_e32 0, v27
	s_xor_b32 s0, exec_lo, s0
; %bb.33:                               ;   in Loop: Header=BB10_29 Depth=1
	s_delay_alu instid0(VALU_DEP_3) | instskip(SKIP_1) | instid1(VALU_DEP_2)
	v_and_b32_e32 v17, 0x1000000, v19
	v_bfe_u32 v28, v19, 24, 1
	v_cmp_eq_u64_e32 vcc_lo, 0, v[17:18]
	s_delay_alu instid0(VALU_DEP_2)
	v_lshrrev_b64 v[19:20], v28, v[19:20]
	v_cndmask_b32_e32 v17, v26, v27, vcc_lo
; %bb.34:                               ;   in Loop: Header=BB10_29 Depth=1
	s_and_not1_saveexec_b32 s0, s0
; %bb.35:                               ;   in Loop: Header=BB10_29 Depth=1
	s_delay_alu instid0(VALU_DEP_2)
	v_bfe_u32 v17, v19, 23, 1
; %bb.36:                               ;   in Loop: Header=BB10_29 Depth=1
	s_or_b32 exec_lo, exec_lo, s0
	s_delay_alu instid0(VALU_DEP_3) | instskip(NEXT) | instid1(VALU_DEP_2)
	v_lshrrev_b64 v[19:20], 20, v[19:20]
	v_cmp_gt_i32_e32 vcc_lo, 16, v17
	v_cmp_ne_u32_e64 s0, 0, v17
	s_delay_alu instid0(VALU_DEP_3) | instskip(NEXT) | instid1(VALU_DEP_1)
	v_dual_cndmask_b32 v20, 0, v20 :: v_dual_cndmask_b32 v19, 7, v19
	v_cmp_ne_u64_e32 vcc_lo, 0, v[19:20]
                                        ; implicit-def: $vgpr20
	s_delay_alu instid0(VALU_DEP_3) | instskip(NEXT) | instid1(SALU_CYCLE_1)
	s_or_b32 s0, s0, vcc_lo
	s_and_saveexec_b32 s1, s0
	s_delay_alu instid0(SALU_CYCLE_1)
	s_xor_b32 s0, exec_lo, s1
; %bb.37:                               ;   in Loop: Header=BB10_29 Depth=1
	v_min_i32_e32 v17, 15, v17
	s_delay_alu instid0(VALU_DEP_1) | instskip(NEXT) | instid1(VALU_DEP_1)
	v_lshl_or_b32 v17, v17, 3, v25
                                        ; implicit-def: $vgpr25
	v_and_or_b32 v20, v19, 7, v17
; %bb.38:                               ;   in Loop: Header=BB10_29 Depth=1
	s_and_not1_saveexec_b32 s0, s0
; %bb.39:                               ;   in Loop: Header=BB10_29 Depth=1
	v_mov_b32_e32 v20, v25
; %bb.40:                               ;   in Loop: Header=BB10_29 Depth=1
	s_or_b32 exec_lo, exec_lo, s0
.LBB10_41:                              ;   in Loop: Header=BB10_29 Depth=1
	s_delay_alu instid0(SALU_CYCLE_1)
	s_or_b32 exec_lo, exec_lo, s16
.LBB10_42:                              ;   in Loop: Header=BB10_29 Depth=1
	s_and_not1_saveexec_b32 s0, s15
	s_delay_alu instid0(SALU_CYCLE_1)
	s_or_b32 exec_lo, exec_lo, s0
                                        ; implicit-def: $vgpr26
.LBB10_43:                              ;   in Loop: Header=BB10_29 Depth=1
	s_and_not1_saveexec_b32 s0, s14
; %bb.44:                               ;   in Loop: Header=BB10_29 Depth=1
	v_cmp_eq_u64_e32 vcc_lo, 0, v[17:18]
	v_or_b32_e32 v19, 0x7f, v26
	s_delay_alu instid0(VALU_DEP_1)
	v_cndmask_b32_e32 v20, v19, v20, vcc_lo
; %bb.45:                               ;   in Loop: Header=BB10_29 Depth=1
	s_or_b32 exec_lo, exec_lo, s0
	v_lshrrev_b32_e32 v13, 16, v13
	v_fma_mixlo_f16 v9, v21, v9, 0 op_sel:[0,1,0] op_sel_hi:[0,1,0]
	v_mov_b32_e32 v27, v18
	global_store_b8 v22, v20, s[2:3]
	s_mov_b32 s0, exec_lo
	v_mul_f16_e32 v9, v13, v9
	s_delay_alu instid0(VALU_DEP_1) | instskip(NEXT) | instid1(VALU_DEP_1)
	v_cvt_f32_f16_e32 v9, v9
	v_mul_f32_e32 v9, v23, v9
	s_delay_alu instid0(VALU_DEP_1) | instskip(NEXT) | instid1(VALU_DEP_1)
	v_minmax_f32 v19, v9, s13, 0xc3e00000
	v_and_b32_e32 v26, 0x7f800000, v19
	v_lshrrev_b32_e32 v25, 24, v19
	v_and_b32_e32 v17, 0x7fffff, v19
	s_delay_alu instid0(VALU_DEP_2) | instskip(NEXT) | instid1(VALU_DEP_1)
	v_and_b32_e32 v9, 0x80, v25
	v_or_b32_e32 v13, 0x7e, v9
	v_cmpx_ne_u64_e32 0x7f800000, v[26:27]
	s_xor_b32 s14, exec_lo, s0
	s_cbranch_execz .LBB10_59
; %bb.46:                               ;   in Loop: Header=BB10_29 Depth=1
	v_dual_mov_b32 v26, v18 :: v_dual_and_b32 v25, 0x7fffffff, v19
	s_mov_b32 s0, exec_lo
	s_delay_alu instid0(VALU_DEP_1)
	v_cmpx_gt_u64_e32 0x43e00001, v[25:26]
	s_xor_b32 s15, exec_lo, s0
	s_cbranch_execz .LBB10_58
; %bb.47:                               ;   in Loop: Header=BB10_29 Depth=1
	v_mov_b32_e32 v13, 0
	s_mov_b32 s16, exec_lo
	v_cmpx_ne_u32_e32 0, v19
	s_cbranch_execz .LBB10_57
; %bb.48:                               ;   in Loop: Header=BB10_29 Depth=1
	v_bfe_u32 v13, v19, 23, 8
	s_delay_alu instid0(VALU_DEP_1) | instskip(SKIP_2) | instid1(VALU_DEP_3)
	v_sub_nc_u32_e64 v19, 0x79, v13 clamp
	v_cmp_eq_u32_e32 vcc_lo, 0, v13
	v_add_nc_u32_e32 v13, 0xffffff88, v13
	v_cndmask_b32_e64 v25, v19, 0x78, vcc_lo
	v_or_b32_e32 v19, 0x800000, v17
	s_delay_alu instid0(VALU_DEP_3) | instskip(NEXT) | instid1(VALU_DEP_3)
	v_cndmask_b32_e64 v13, v13, 0xffffff89, vcc_lo
	v_add_nc_u32_e32 v20, 20, v25
	s_delay_alu instid0(VALU_DEP_3) | instskip(SKIP_1) | instid1(VALU_DEP_3)
	v_cndmask_b32_e32 v17, v19, v17, vcc_lo
	v_add_nc_u32_e32 v28, 19, v25
	v_lshlrev_b64 v[19:20], v20, -1
	s_delay_alu instid0(VALU_DEP_3) | instskip(NEXT) | instid1(VALU_DEP_2)
	v_lshrrev_b64 v[26:27], v25, v[17:18]
	v_not_b32_e32 v29, v20
	s_delay_alu instid0(VALU_DEP_3) | instskip(SKIP_1) | instid1(VALU_DEP_3)
	v_not_b32_e32 v30, v19
	v_lshlrev_b64 v[19:20], v28, 1
	v_and_b32_e32 v29, 0, v29
	s_delay_alu instid0(VALU_DEP_3) | instskip(SKIP_1) | instid1(VALU_DEP_2)
	v_and_b32_e32 v28, v17, v30
	v_and_b32_e32 v17, 0x100000, v26
	v_cmp_eq_u64_e64 s0, v[28:29], v[19:20]
	s_delay_alu instid0(VALU_DEP_2) | instskip(SKIP_1) | instid1(VALU_DEP_1)
	v_cmp_eq_u64_e64 s1, 0, v[17:18]
	v_lshrrev_b32_e32 v17, 23, v26
	v_add3_u32 v13, v13, v25, v17
	s_delay_alu instid0(VALU_DEP_3) | instskip(SKIP_2) | instid1(VALU_DEP_2)
	s_and_b32 vcc_lo, s1, s0
	s_mov_b32 s0, exec_lo
	v_subrev_co_ci_u32_e32 v19, vcc_lo, 0, v26, vcc_lo
	v_add_nc_u32_e32 v25, -1, v13
	s_delay_alu instid0(VALU_DEP_2) | instskip(NEXT) | instid1(VALU_DEP_1)
	v_and_b32_e32 v17, 0xfffff, v19
	v_add_co_u32 v19, vcc_lo, v17, v26
	v_add_co_ci_u32_e32 v20, vcc_lo, 0, v27, vcc_lo
                                        ; implicit-def: $vgpr17
	s_delay_alu instid0(VALU_DEP_4)
	v_cmpx_ne_u32_e32 0, v25
	s_xor_b32 s0, exec_lo, s0
; %bb.49:                               ;   in Loop: Header=BB10_29 Depth=1
	s_delay_alu instid0(VALU_DEP_3) | instskip(SKIP_1) | instid1(VALU_DEP_2)
	v_and_b32_e32 v17, 0x1000000, v19
	v_bfe_u32 v26, v19, 24, 1
	v_cmp_eq_u64_e32 vcc_lo, 0, v[17:18]
	s_delay_alu instid0(VALU_DEP_2)
	v_lshrrev_b64 v[19:20], v26, v[19:20]
	v_cndmask_b32_e32 v17, v13, v25, vcc_lo
; %bb.50:                               ;   in Loop: Header=BB10_29 Depth=1
	s_and_not1_saveexec_b32 s0, s0
; %bb.51:                               ;   in Loop: Header=BB10_29 Depth=1
	s_delay_alu instid0(VALU_DEP_2)
	v_bfe_u32 v17, v19, 23, 1
; %bb.52:                               ;   in Loop: Header=BB10_29 Depth=1
	s_or_b32 exec_lo, exec_lo, s0
	s_delay_alu instid0(VALU_DEP_3) | instskip(NEXT) | instid1(VALU_DEP_2)
	v_lshrrev_b64 v[19:20], 20, v[19:20]
	v_cmp_gt_i32_e32 vcc_lo, 16, v17
	v_cmp_ne_u32_e64 s0, 0, v17
                                        ; implicit-def: $vgpr13
	s_delay_alu instid0(VALU_DEP_3) | instskip(NEXT) | instid1(VALU_DEP_1)
	v_dual_cndmask_b32 v20, 0, v20 :: v_dual_cndmask_b32 v19, 7, v19
	v_cmp_ne_u64_e32 vcc_lo, 0, v[19:20]
	s_delay_alu instid0(VALU_DEP_3) | instskip(NEXT) | instid1(SALU_CYCLE_1)
	s_or_b32 s0, s0, vcc_lo
	s_and_saveexec_b32 s1, s0
	s_delay_alu instid0(SALU_CYCLE_1)
	s_xor_b32 s0, exec_lo, s1
; %bb.53:                               ;   in Loop: Header=BB10_29 Depth=1
	v_min_i32_e32 v13, 15, v17
	s_delay_alu instid0(VALU_DEP_1) | instskip(NEXT) | instid1(VALU_DEP_1)
	v_lshl_or_b32 v9, v13, 3, v9
	v_and_or_b32 v13, v19, 7, v9
                                        ; implicit-def: $vgpr9
; %bb.54:                               ;   in Loop: Header=BB10_29 Depth=1
	s_and_not1_saveexec_b32 s0, s0
; %bb.55:                               ;   in Loop: Header=BB10_29 Depth=1
	v_mov_b32_e32 v13, v9
; %bb.56:                               ;   in Loop: Header=BB10_29 Depth=1
	s_or_b32 exec_lo, exec_lo, s0
.LBB10_57:                              ;   in Loop: Header=BB10_29 Depth=1
	s_delay_alu instid0(SALU_CYCLE_1)
	s_or_b32 exec_lo, exec_lo, s16
.LBB10_58:                              ;   in Loop: Header=BB10_29 Depth=1
	s_and_not1_saveexec_b32 s0, s15
	s_delay_alu instid0(SALU_CYCLE_1)
	s_or_b32 exec_lo, exec_lo, s0
                                        ; implicit-def: $vgpr25
.LBB10_59:                              ;   in Loop: Header=BB10_29 Depth=1
	s_and_not1_saveexec_b32 s0, s14
; %bb.60:                               ;   in Loop: Header=BB10_29 Depth=1
	v_cmp_eq_u64_e32 vcc_lo, 0, v[17:18]
	v_or_b32_e32 v9, 0x7f, v25
	s_delay_alu instid0(VALU_DEP_1)
	v_cndmask_b32_e32 v13, v9, v13, vcc_lo
; %bb.61:                               ;   in Loop: Header=BB10_29 Depth=1
	s_or_b32 exec_lo, exec_lo, s0
	v_fma_mixlo_f16 v9, v21, v10, 0 op_sel_hi:[0,1,0]
	v_dual_mov_b32 v27, v18 :: v_dual_add_nc_u32 v28, 1, v22
	s_mov_b32 s0, exec_lo
	s_delay_alu instid0(VALU_DEP_2) | instskip(SKIP_2) | instid1(VALU_DEP_1)
	v_mul_f16_e32 v9, v14, v9
	global_store_b8 v28, v13, s[2:3]
	v_cvt_f32_f16_e32 v9, v9
	v_mul_f32_e32 v9, v23, v9
	s_delay_alu instid0(VALU_DEP_1) | instskip(NEXT) | instid1(VALU_DEP_1)
	v_minmax_f32 v19, v9, s13, 0xc3e00000
	v_and_b32_e32 v26, 0x7f800000, v19
	v_lshrrev_b32_e32 v25, 24, v19
	v_and_b32_e32 v17, 0x7fffff, v19
	s_delay_alu instid0(VALU_DEP_2) | instskip(NEXT) | instid1(VALU_DEP_1)
	v_and_b32_e32 v9, 0x80, v25
	v_or_b32_e32 v20, 0x7e, v9
	v_cmpx_ne_u64_e32 0x7f800000, v[26:27]
	s_xor_b32 s14, exec_lo, s0
	s_cbranch_execz .LBB10_75
; %bb.62:                               ;   in Loop: Header=BB10_29 Depth=1
	v_dual_mov_b32 v26, v18 :: v_dual_and_b32 v25, 0x7fffffff, v19
	s_mov_b32 s0, exec_lo
	s_delay_alu instid0(VALU_DEP_1)
	v_cmpx_gt_u64_e32 0x43e00001, v[25:26]
	s_xor_b32 s15, exec_lo, s0
	s_cbranch_execz .LBB10_74
; %bb.63:                               ;   in Loop: Header=BB10_29 Depth=1
	v_mov_b32_e32 v20, 0
	s_mov_b32 s16, exec_lo
	v_cmpx_ne_u32_e32 0, v19
	s_cbranch_execz .LBB10_73
; %bb.64:                               ;   in Loop: Header=BB10_29 Depth=1
	v_bfe_u32 v13, v19, 23, 8
	s_delay_alu instid0(VALU_DEP_1) | instskip(SKIP_2) | instid1(VALU_DEP_3)
	v_sub_nc_u32_e64 v19, 0x79, v13 clamp
	v_cmp_eq_u32_e32 vcc_lo, 0, v13
	v_add_nc_u32_e32 v13, 0xffffff88, v13
	v_cndmask_b32_e64 v29, v19, 0x78, vcc_lo
	v_or_b32_e32 v19, 0x800000, v17
	s_delay_alu instid0(VALU_DEP_3) | instskip(NEXT) | instid1(VALU_DEP_3)
	v_cndmask_b32_e64 v13, v13, 0xffffff89, vcc_lo
	v_add_nc_u32_e32 v20, 20, v29
	s_delay_alu instid0(VALU_DEP_3) | instskip(SKIP_1) | instid1(VALU_DEP_3)
	v_cndmask_b32_e32 v17, v19, v17, vcc_lo
	v_add_nc_u32_e32 v25, 19, v29
	v_lshlrev_b64 v[19:20], v20, -1
	s_delay_alu instid0(VALU_DEP_1) | instskip(NEXT) | instid1(VALU_DEP_2)
	v_not_b32_e32 v26, v20
	v_not_b32_e32 v30, v19
	s_delay_alu instid0(VALU_DEP_4) | instskip(NEXT) | instid1(VALU_DEP_3)
	v_lshlrev_b64 v[19:20], v25, 1
	v_and_b32_e32 v26, 0, v26
	v_lshrrev_b64 v[27:28], v29, v[17:18]
	s_delay_alu instid0(VALU_DEP_4) | instskip(NEXT) | instid1(VALU_DEP_1)
	v_and_b32_e32 v25, v17, v30
	v_cmp_eq_u64_e64 s0, v[25:26], v[19:20]
	s_delay_alu instid0(VALU_DEP_3) | instskip(NEXT) | instid1(VALU_DEP_1)
	v_and_b32_e32 v17, 0x100000, v27
	v_cmp_eq_u64_e64 s1, 0, v[17:18]
	v_lshrrev_b32_e32 v17, 23, v27
	s_delay_alu instid0(VALU_DEP_1) | instskip(NEXT) | instid1(VALU_DEP_3)
	v_add3_u32 v25, v13, v29, v17
	s_and_b32 vcc_lo, s1, s0
	s_mov_b32 s0, exec_lo
	v_subrev_co_ci_u32_e32 v19, vcc_lo, 0, v27, vcc_lo
	s_delay_alu instid0(VALU_DEP_2) | instskip(NEXT) | instid1(VALU_DEP_2)
	v_add_nc_u32_e32 v26, -1, v25
	v_and_b32_e32 v13, 0xfffff, v19
	s_delay_alu instid0(VALU_DEP_1) | instskip(SKIP_1) | instid1(VALU_DEP_4)
	v_add_co_u32 v19, vcc_lo, v13, v27
	v_add_co_ci_u32_e32 v20, vcc_lo, 0, v28, vcc_lo
                                        ; implicit-def: $vgpr13
	v_cmpx_ne_u32_e32 0, v26
	s_xor_b32 s0, exec_lo, s0
; %bb.65:                               ;   in Loop: Header=BB10_29 Depth=1
	s_delay_alu instid0(VALU_DEP_3) | instskip(SKIP_1) | instid1(VALU_DEP_2)
	v_and_b32_e32 v17, 0x1000000, v19
	v_bfe_u32 v13, v19, 24, 1
	v_cmp_eq_u64_e32 vcc_lo, 0, v[17:18]
	s_delay_alu instid0(VALU_DEP_2)
	v_lshrrev_b64 v[19:20], v13, v[19:20]
	v_cndmask_b32_e32 v13, v25, v26, vcc_lo
; %bb.66:                               ;   in Loop: Header=BB10_29 Depth=1
	s_and_not1_saveexec_b32 s0, s0
; %bb.67:                               ;   in Loop: Header=BB10_29 Depth=1
	s_delay_alu instid0(VALU_DEP_2)
	v_bfe_u32 v13, v19, 23, 1
; %bb.68:                               ;   in Loop: Header=BB10_29 Depth=1
	s_or_b32 exec_lo, exec_lo, s0
	s_delay_alu instid0(VALU_DEP_3) | instskip(NEXT) | instid1(VALU_DEP_2)
	v_lshrrev_b64 v[19:20], 20, v[19:20]
	v_cmp_gt_i32_e32 vcc_lo, 16, v13
	v_cmp_ne_u32_e64 s0, 0, v13
	s_delay_alu instid0(VALU_DEP_3) | instskip(NEXT) | instid1(VALU_DEP_1)
	v_dual_cndmask_b32 v20, 0, v20 :: v_dual_cndmask_b32 v19, 7, v19
	v_cmp_ne_u64_e32 vcc_lo, 0, v[19:20]
                                        ; implicit-def: $vgpr20
	s_delay_alu instid0(VALU_DEP_3) | instskip(NEXT) | instid1(SALU_CYCLE_1)
	s_or_b32 s0, s0, vcc_lo
	s_and_saveexec_b32 s1, s0
	s_delay_alu instid0(SALU_CYCLE_1)
	s_xor_b32 s0, exec_lo, s1
; %bb.69:                               ;   in Loop: Header=BB10_29 Depth=1
	v_min_i32_e32 v13, 15, v13
	s_delay_alu instid0(VALU_DEP_1) | instskip(NEXT) | instid1(VALU_DEP_1)
	v_lshl_or_b32 v9, v13, 3, v9
	v_and_or_b32 v20, v19, 7, v9
                                        ; implicit-def: $vgpr9
; %bb.70:                               ;   in Loop: Header=BB10_29 Depth=1
	s_and_not1_saveexec_b32 s0, s0
; %bb.71:                               ;   in Loop: Header=BB10_29 Depth=1
	v_mov_b32_e32 v20, v9
; %bb.72:                               ;   in Loop: Header=BB10_29 Depth=1
	s_or_b32 exec_lo, exec_lo, s0
.LBB10_73:                              ;   in Loop: Header=BB10_29 Depth=1
	s_delay_alu instid0(SALU_CYCLE_1)
	s_or_b32 exec_lo, exec_lo, s16
.LBB10_74:                              ;   in Loop: Header=BB10_29 Depth=1
	s_and_not1_saveexec_b32 s0, s15
	s_delay_alu instid0(SALU_CYCLE_1)
	s_or_b32 exec_lo, exec_lo, s0
                                        ; implicit-def: $vgpr25
.LBB10_75:                              ;   in Loop: Header=BB10_29 Depth=1
	s_and_not1_saveexec_b32 s0, s14
; %bb.76:                               ;   in Loop: Header=BB10_29 Depth=1
	v_cmp_eq_u64_e32 vcc_lo, 0, v[17:18]
	v_or_b32_e32 v9, 0x7f, v25
	s_delay_alu instid0(VALU_DEP_1)
	v_cndmask_b32_e32 v20, v9, v20, vcc_lo
; %bb.77:                               ;   in Loop: Header=BB10_29 Depth=1
	s_or_b32 exec_lo, exec_lo, s0
	v_lshrrev_b32_e32 v9, 16, v14
	v_fma_mixlo_f16 v10, v21, v10, 0 op_sel:[0,1,0] op_sel_hi:[0,1,0]
	v_add_nc_u32_e32 v19, 2, v22
	s_mov_b32 s0, exec_lo
	v_mov_b32_e32 v26, v18
	s_delay_alu instid0(VALU_DEP_3) | instskip(SKIP_2) | instid1(VALU_DEP_1)
	v_mul_f16_e32 v9, v9, v10
	global_store_b8 v19, v20, s[2:3]
	v_cvt_f32_f16_e32 v9, v9
	v_mul_f32_e32 v9, v23, v9
	s_delay_alu instid0(VALU_DEP_1) | instskip(NEXT) | instid1(VALU_DEP_1)
	v_minmax_f32 v9, v9, s13, 0xc3e00000
	v_lshrrev_b32_e32 v10, 24, v9
	v_and_b32_e32 v25, 0x7f800000, v9
	v_and_b32_e32 v17, 0x7fffff, v9
	s_delay_alu instid0(VALU_DEP_3) | instskip(NEXT) | instid1(VALU_DEP_1)
	v_and_b32_e32 v13, 0x80, v10
	v_or_b32_e32 v14, 0x7e, v13
	s_delay_alu instid0(VALU_DEP_4)
	v_cmpx_ne_u64_e32 0x7f800000, v[25:26]
	s_xor_b32 s14, exec_lo, s0
	s_cbranch_execz .LBB10_91
; %bb.78:                               ;   in Loop: Header=BB10_29 Depth=1
	v_dual_mov_b32 v20, v18 :: v_dual_and_b32 v19, 0x7fffffff, v9
	s_mov_b32 s0, exec_lo
	s_delay_alu instid0(VALU_DEP_1)
	v_cmpx_gt_u64_e32 0x43e00001, v[19:20]
	s_xor_b32 s15, exec_lo, s0
	s_cbranch_execz .LBB10_90
; %bb.79:                               ;   in Loop: Header=BB10_29 Depth=1
	v_mov_b32_e32 v14, 0
	s_mov_b32 s16, exec_lo
	v_cmpx_ne_u32_e32 0, v9
	s_cbranch_execz .LBB10_89
; %bb.80:                               ;   in Loop: Header=BB10_29 Depth=1
	v_bfe_u32 v14, v9, 23, 8
	s_delay_alu instid0(VALU_DEP_1) | instskip(SKIP_2) | instid1(VALU_DEP_3)
	v_sub_nc_u32_e64 v9, 0x79, v14 clamp
	v_cmp_eq_u32_e32 vcc_lo, 0, v14
	v_add_nc_u32_e32 v14, 0xffffff88, v14
	v_cndmask_b32_e64 v27, v9, 0x78, vcc_lo
	v_or_b32_e32 v9, 0x800000, v17
	s_delay_alu instid0(VALU_DEP_1) | instskip(SKIP_1) | instid1(VALU_DEP_2)
	v_dual_cndmask_b32 v17, v9, v17 :: v_dual_add_nc_u32 v10, 20, v27
	v_add_nc_u32_e32 v19, 19, v27
	v_lshlrev_b64 v[9:10], v10, -1
	s_delay_alu instid0(VALU_DEP_3) | instskip(NEXT) | instid1(VALU_DEP_2)
	v_lshrrev_b64 v[25:26], v27, v[17:18]
	v_not_b32_e32 v20, v10
	s_delay_alu instid0(VALU_DEP_3) | instskip(SKIP_1) | instid1(VALU_DEP_3)
	v_not_b32_e32 v28, v9
	v_lshlrev_b64 v[9:10], v19, 1
	v_and_b32_e32 v20, 0, v20
	s_delay_alu instid0(VALU_DEP_3) | instskip(SKIP_1) | instid1(VALU_DEP_2)
	v_and_b32_e32 v19, v17, v28
	v_and_b32_e32 v17, 0x100000, v25
	v_cmp_eq_u64_e64 s0, v[19:20], v[9:10]
	s_delay_alu instid0(VALU_DEP_2) | instskip(SKIP_2) | instid1(VALU_DEP_3)
	v_cmp_eq_u64_e64 s1, 0, v[17:18]
	v_cndmask_b32_e64 v9, v14, 0xffffff89, vcc_lo
	v_lshrrev_b32_e32 v10, 23, v25
	s_and_b32 vcc_lo, s1, s0
	s_delay_alu instid0(VALU_DEP_1) | instskip(SKIP_2) | instid1(VALU_DEP_2)
	v_add3_u32 v14, v9, v27, v10
	v_subrev_co_ci_u32_e32 v17, vcc_lo, 0, v25, vcc_lo
	s_mov_b32 s0, exec_lo
	v_add_nc_u32_e32 v19, -1, v14
	s_delay_alu instid0(VALU_DEP_2) | instskip(NEXT) | instid1(VALU_DEP_1)
	v_and_b32_e32 v9, 0xfffff, v17
                                        ; implicit-def: $vgpr17
	v_add_co_u32 v9, vcc_lo, v9, v25
	v_add_co_ci_u32_e32 v10, vcc_lo, 0, v26, vcc_lo
	s_delay_alu instid0(VALU_DEP_4)
	v_cmpx_ne_u32_e32 0, v19
	s_xor_b32 s0, exec_lo, s0
; %bb.81:                               ;   in Loop: Header=BB10_29 Depth=1
	s_delay_alu instid0(VALU_DEP_3) | instskip(SKIP_1) | instid1(VALU_DEP_2)
	v_and_b32_e32 v17, 0x1000000, v9
	v_bfe_u32 v20, v9, 24, 1
	v_cmp_eq_u64_e32 vcc_lo, 0, v[17:18]
	s_delay_alu instid0(VALU_DEP_2)
	v_lshrrev_b64 v[9:10], v20, v[9:10]
	v_cndmask_b32_e32 v17, v14, v19, vcc_lo
; %bb.82:                               ;   in Loop: Header=BB10_29 Depth=1
	s_and_not1_saveexec_b32 s0, s0
; %bb.83:                               ;   in Loop: Header=BB10_29 Depth=1
	s_delay_alu instid0(VALU_DEP_2)
	v_bfe_u32 v17, v9, 23, 1
; %bb.84:                               ;   in Loop: Header=BB10_29 Depth=1
	s_or_b32 exec_lo, exec_lo, s0
	s_delay_alu instid0(VALU_DEP_3) | instskip(NEXT) | instid1(VALU_DEP_2)
	v_lshrrev_b64 v[9:10], 20, v[9:10]
	v_cmp_gt_i32_e32 vcc_lo, 16, v17
	v_cmp_ne_u32_e64 s0, 0, v17
                                        ; implicit-def: $vgpr14
	s_delay_alu instid0(VALU_DEP_3) | instskip(NEXT) | instid1(VALU_DEP_1)
	v_dual_cndmask_b32 v10, 0, v10 :: v_dual_cndmask_b32 v9, 7, v9
	v_cmp_ne_u64_e32 vcc_lo, 0, v[9:10]
	s_delay_alu instid0(VALU_DEP_3) | instskip(NEXT) | instid1(SALU_CYCLE_1)
	s_or_b32 s0, s0, vcc_lo
	s_and_saveexec_b32 s1, s0
	s_delay_alu instid0(SALU_CYCLE_1)
	s_xor_b32 s0, exec_lo, s1
; %bb.85:                               ;   in Loop: Header=BB10_29 Depth=1
	v_min_i32_e32 v10, 15, v17
	s_delay_alu instid0(VALU_DEP_1) | instskip(NEXT) | instid1(VALU_DEP_1)
	v_lshl_or_b32 v10, v10, 3, v13
                                        ; implicit-def: $vgpr13
	v_and_or_b32 v14, v9, 7, v10
; %bb.86:                               ;   in Loop: Header=BB10_29 Depth=1
	s_and_not1_saveexec_b32 s0, s0
; %bb.87:                               ;   in Loop: Header=BB10_29 Depth=1
	v_mov_b32_e32 v14, v13
; %bb.88:                               ;   in Loop: Header=BB10_29 Depth=1
	s_or_b32 exec_lo, exec_lo, s0
.LBB10_89:                              ;   in Loop: Header=BB10_29 Depth=1
	s_delay_alu instid0(SALU_CYCLE_1)
	s_or_b32 exec_lo, exec_lo, s16
.LBB10_90:                              ;   in Loop: Header=BB10_29 Depth=1
	s_and_not1_saveexec_b32 s0, s15
	s_delay_alu instid0(SALU_CYCLE_1)
	s_or_b32 exec_lo, exec_lo, s0
                                        ; implicit-def: $vgpr10
.LBB10_91:                              ;   in Loop: Header=BB10_29 Depth=1
	s_and_not1_saveexec_b32 s0, s14
; %bb.92:                               ;   in Loop: Header=BB10_29 Depth=1
	v_cmp_eq_u64_e32 vcc_lo, 0, v[17:18]
	v_or_b32_e32 v9, 0x7f, v10
	s_delay_alu instid0(VALU_DEP_1)
	v_cndmask_b32_e32 v14, v9, v14, vcc_lo
; %bb.93:                               ;   in Loop: Header=BB10_29 Depth=1
	s_or_b32 exec_lo, exec_lo, s0
	v_fma_mixlo_f16 v9, v21, v11, 0 op_sel_hi:[0,1,0]
	v_add_nc_u32_e32 v20, 3, v22
	s_mov_b32 s0, exec_lo
	v_mov_b32_e32 v26, v18
	s_delay_alu instid0(VALU_DEP_3) | instskip(SKIP_2) | instid1(VALU_DEP_1)
	v_mul_f16_e32 v9, v15, v9
	global_store_b8 v20, v14, s[2:3]
	v_cvt_f32_f16_e32 v9, v9
	v_mul_f32_e32 v9, v23, v9
	s_delay_alu instid0(VALU_DEP_1) | instskip(NEXT) | instid1(VALU_DEP_1)
	v_minmax_f32 v9, v9, s13, 0xc3e00000
	v_lshrrev_b32_e32 v19, 24, v9
	v_and_b32_e32 v25, 0x7f800000, v9
	v_and_b32_e32 v17, 0x7fffff, v9
	s_delay_alu instid0(VALU_DEP_3) | instskip(NEXT) | instid1(VALU_DEP_1)
	v_and_b32_e32 v13, 0x80, v19
	v_or_b32_e32 v10, 0x7e, v13
	s_delay_alu instid0(VALU_DEP_4)
	v_cmpx_ne_u64_e32 0x7f800000, v[25:26]
	s_xor_b32 s14, exec_lo, s0
	s_cbranch_execz .LBB10_107
; %bb.94:                               ;   in Loop: Header=BB10_29 Depth=1
	v_dual_mov_b32 v20, v18 :: v_dual_and_b32 v19, 0x7fffffff, v9
	s_mov_b32 s0, exec_lo
	s_delay_alu instid0(VALU_DEP_1)
	v_cmpx_gt_u64_e32 0x43e00001, v[19:20]
	s_xor_b32 s15, exec_lo, s0
	s_cbranch_execz .LBB10_106
; %bb.95:                               ;   in Loop: Header=BB10_29 Depth=1
	v_mov_b32_e32 v10, 0
	s_mov_b32 s16, exec_lo
	v_cmpx_ne_u32_e32 0, v9
	s_cbranch_execz .LBB10_105
; %bb.96:                               ;   in Loop: Header=BB10_29 Depth=1
	v_bfe_u32 v14, v9, 23, 8
	s_delay_alu instid0(VALU_DEP_1) | instskip(SKIP_2) | instid1(VALU_DEP_3)
	v_sub_nc_u32_e64 v9, 0x79, v14 clamp
	v_cmp_eq_u32_e32 vcc_lo, 0, v14
	v_add_nc_u32_e32 v14, 0xffffff88, v14
	v_cndmask_b32_e64 v27, v9, 0x78, vcc_lo
	v_or_b32_e32 v9, 0x800000, v17
	s_delay_alu instid0(VALU_DEP_1) | instskip(SKIP_1) | instid1(VALU_DEP_2)
	v_dual_cndmask_b32 v17, v9, v17 :: v_dual_add_nc_u32 v10, 20, v27
	v_add_nc_u32_e32 v19, 19, v27
	v_lshlrev_b64 v[9:10], v10, -1
	s_delay_alu instid0(VALU_DEP_3) | instskip(NEXT) | instid1(VALU_DEP_2)
	v_lshrrev_b64 v[25:26], v27, v[17:18]
	v_not_b32_e32 v20, v10
	s_delay_alu instid0(VALU_DEP_3) | instskip(SKIP_1) | instid1(VALU_DEP_3)
	v_not_b32_e32 v28, v9
	v_lshlrev_b64 v[9:10], v19, 1
	v_and_b32_e32 v20, 0, v20
	s_delay_alu instid0(VALU_DEP_3) | instskip(SKIP_1) | instid1(VALU_DEP_2)
	v_and_b32_e32 v19, v17, v28
	v_and_b32_e32 v17, 0x100000, v25
	v_cmp_eq_u64_e64 s0, v[19:20], v[9:10]
	s_delay_alu instid0(VALU_DEP_2) | instskip(SKIP_2) | instid1(VALU_DEP_3)
	v_cmp_eq_u64_e64 s1, 0, v[17:18]
	v_cndmask_b32_e64 v9, v14, 0xffffff89, vcc_lo
	v_lshrrev_b32_e32 v10, 23, v25
	s_and_b32 vcc_lo, s1, s0
	s_delay_alu instid0(VALU_DEP_1) | instskip(SKIP_2) | instid1(VALU_DEP_2)
	v_add3_u32 v19, v9, v27, v10
	v_subrev_co_ci_u32_e32 v14, vcc_lo, 0, v25, vcc_lo
	s_mov_b32 s0, exec_lo
	v_add_nc_u32_e32 v20, -1, v19
	s_delay_alu instid0(VALU_DEP_2) | instskip(NEXT) | instid1(VALU_DEP_1)
	v_and_b32_e32 v9, 0xfffff, v14
                                        ; implicit-def: $vgpr14
	v_add_co_u32 v9, vcc_lo, v9, v25
	v_add_co_ci_u32_e32 v10, vcc_lo, 0, v26, vcc_lo
	s_delay_alu instid0(VALU_DEP_4)
	v_cmpx_ne_u32_e32 0, v20
	s_xor_b32 s0, exec_lo, s0
; %bb.97:                               ;   in Loop: Header=BB10_29 Depth=1
	s_delay_alu instid0(VALU_DEP_3) | instskip(SKIP_1) | instid1(VALU_DEP_2)
	v_and_b32_e32 v17, 0x1000000, v9
	v_bfe_u32 v14, v9, 24, 1
	v_cmp_eq_u64_e32 vcc_lo, 0, v[17:18]
	s_delay_alu instid0(VALU_DEP_2)
	v_lshrrev_b64 v[9:10], v14, v[9:10]
	v_cndmask_b32_e32 v14, v19, v20, vcc_lo
; %bb.98:                               ;   in Loop: Header=BB10_29 Depth=1
	s_and_not1_saveexec_b32 s0, s0
; %bb.99:                               ;   in Loop: Header=BB10_29 Depth=1
	s_delay_alu instid0(VALU_DEP_2)
	v_bfe_u32 v14, v9, 23, 1
; %bb.100:                              ;   in Loop: Header=BB10_29 Depth=1
	s_or_b32 exec_lo, exec_lo, s0
	s_delay_alu instid0(VALU_DEP_3) | instskip(NEXT) | instid1(VALU_DEP_2)
	v_lshrrev_b64 v[9:10], 20, v[9:10]
	v_cmp_gt_i32_e32 vcc_lo, 16, v14
	v_cmp_ne_u32_e64 s0, 0, v14
	s_delay_alu instid0(VALU_DEP_3) | instskip(NEXT) | instid1(VALU_DEP_1)
	v_dual_cndmask_b32 v10, 0, v10 :: v_dual_cndmask_b32 v9, 7, v9
	v_cmp_ne_u64_e32 vcc_lo, 0, v[9:10]
                                        ; implicit-def: $vgpr10
	s_delay_alu instid0(VALU_DEP_3) | instskip(NEXT) | instid1(SALU_CYCLE_1)
	s_or_b32 s0, s0, vcc_lo
	s_and_saveexec_b32 s1, s0
	s_delay_alu instid0(SALU_CYCLE_1)
	s_xor_b32 s0, exec_lo, s1
; %bb.101:                              ;   in Loop: Header=BB10_29 Depth=1
	v_min_i32_e32 v10, 15, v14
	s_delay_alu instid0(VALU_DEP_1) | instskip(NEXT) | instid1(VALU_DEP_1)
	v_lshl_or_b32 v10, v10, 3, v13
                                        ; implicit-def: $vgpr13
	v_and_or_b32 v10, v9, 7, v10
; %bb.102:                              ;   in Loop: Header=BB10_29 Depth=1
	s_and_not1_saveexec_b32 s0, s0
; %bb.103:                              ;   in Loop: Header=BB10_29 Depth=1
	v_mov_b32_e32 v10, v13
; %bb.104:                              ;   in Loop: Header=BB10_29 Depth=1
	s_or_b32 exec_lo, exec_lo, s0
.LBB10_105:                             ;   in Loop: Header=BB10_29 Depth=1
	s_delay_alu instid0(SALU_CYCLE_1)
	s_or_b32 exec_lo, exec_lo, s16
.LBB10_106:                             ;   in Loop: Header=BB10_29 Depth=1
	s_and_not1_saveexec_b32 s0, s15
	s_delay_alu instid0(SALU_CYCLE_1)
	s_or_b32 exec_lo, exec_lo, s0
                                        ; implicit-def: $vgpr19
.LBB10_107:                             ;   in Loop: Header=BB10_29 Depth=1
	s_and_not1_saveexec_b32 s0, s14
; %bb.108:                              ;   in Loop: Header=BB10_29 Depth=1
	v_cmp_eq_u64_e32 vcc_lo, 0, v[17:18]
	v_or_b32_e32 v9, 0x7f, v19
	s_delay_alu instid0(VALU_DEP_1)
	v_cndmask_b32_e32 v10, v9, v10, vcc_lo
; %bb.109:                              ;   in Loop: Header=BB10_29 Depth=1
	s_or_b32 exec_lo, exec_lo, s0
	v_lshrrev_b32_e32 v9, 16, v15
	v_fma_mixlo_f16 v11, v21, v11, 0 op_sel:[0,1,0] op_sel_hi:[0,1,0]
	v_add_nc_u32_e32 v15, 4, v22
	s_mov_b32 s0, exec_lo
	v_mov_b32_e32 v20, v18
	s_delay_alu instid0(VALU_DEP_3) | instskip(SKIP_2) | instid1(VALU_DEP_1)
	v_mul_f16_e32 v9, v9, v11
	global_store_b8 v15, v10, s[2:3]
	v_cvt_f32_f16_e32 v9, v9
	v_mul_f32_e32 v9, v23, v9
	s_delay_alu instid0(VALU_DEP_1) | instskip(NEXT) | instid1(VALU_DEP_1)
	v_minmax_f32 v9, v9, s13, 0xc3e00000
	v_lshrrev_b32_e32 v14, 24, v9
	v_and_b32_e32 v19, 0x7f800000, v9
	v_and_b32_e32 v17, 0x7fffff, v9
	s_delay_alu instid0(VALU_DEP_3) | instskip(NEXT) | instid1(VALU_DEP_1)
	v_and_b32_e32 v11, 0x80, v14
	v_or_b32_e32 v13, 0x7e, v11
	s_delay_alu instid0(VALU_DEP_4)
	v_cmpx_ne_u64_e32 0x7f800000, v[19:20]
	s_xor_b32 s14, exec_lo, s0
	s_cbranch_execz .LBB10_123
; %bb.110:                              ;   in Loop: Header=BB10_29 Depth=1
	v_dual_mov_b32 v15, v18 :: v_dual_and_b32 v14, 0x7fffffff, v9
	s_mov_b32 s0, exec_lo
	s_delay_alu instid0(VALU_DEP_1)
	v_cmpx_gt_u64_e32 0x43e00001, v[14:15]
	s_xor_b32 s15, exec_lo, s0
	s_cbranch_execz .LBB10_122
; %bb.111:                              ;   in Loop: Header=BB10_29 Depth=1
	v_mov_b32_e32 v13, 0
	s_mov_b32 s16, exec_lo
	v_cmpx_ne_u32_e32 0, v9
	s_cbranch_execz .LBB10_121
; %bb.112:                              ;   in Loop: Header=BB10_29 Depth=1
	v_bfe_u32 v15, v9, 23, 8
	s_delay_alu instid0(VALU_DEP_1) | instskip(SKIP_2) | instid1(VALU_DEP_3)
	v_sub_nc_u32_e64 v9, 0x79, v15 clamp
	v_cmp_eq_u32_e32 vcc_lo, 0, v15
	v_add_nc_u32_e32 v15, 0xffffff88, v15
	v_cndmask_b32_e64 v25, v9, 0x78, vcc_lo
	v_or_b32_e32 v9, 0x800000, v17
	s_delay_alu instid0(VALU_DEP_2) | instskip(NEXT) | instid1(VALU_DEP_2)
	v_add_nc_u32_e32 v10, 20, v25
	v_cndmask_b32_e32 v17, v9, v17, vcc_lo
	v_add_nc_u32_e32 v13, 19, v25
	s_delay_alu instid0(VALU_DEP_3) | instskip(NEXT) | instid1(VALU_DEP_1)
	v_lshlrev_b64 v[9:10], v10, -1
	v_not_b32_e32 v14, v10
	s_delay_alu instid0(VALU_DEP_2) | instskip(NEXT) | instid1(VALU_DEP_4)
	v_not_b32_e32 v26, v9
	v_lshlrev_b64 v[9:10], v13, 1
	s_delay_alu instid0(VALU_DEP_3) | instskip(SKIP_1) | instid1(VALU_DEP_4)
	v_and_b32_e32 v14, 0, v14
	v_lshrrev_b64 v[19:20], v25, v[17:18]
	v_and_b32_e32 v13, v17, v26
	s_delay_alu instid0(VALU_DEP_1) | instskip(NEXT) | instid1(VALU_DEP_3)
	v_cmp_eq_u64_e64 s0, v[13:14], v[9:10]
	v_and_b32_e32 v17, 0x100000, v19
	v_cndmask_b32_e64 v9, v15, 0xffffff89, vcc_lo
	v_lshrrev_b32_e32 v10, 23, v19
	s_delay_alu instid0(VALU_DEP_3) | instskip(NEXT) | instid1(VALU_DEP_2)
	v_cmp_eq_u64_e64 s1, 0, v[17:18]
	v_add3_u32 v13, v9, v25, v10
	s_delay_alu instid0(VALU_DEP_2) | instskip(NEXT) | instid1(VALU_DEP_1)
	s_and_b32 vcc_lo, s1, s0
	v_add_nc_u32_e32 v15, -1, v13
	v_subrev_co_ci_u32_e32 v14, vcc_lo, 0, v19, vcc_lo
	s_mov_b32 s0, exec_lo
	s_delay_alu instid0(VALU_DEP_1) | instskip(NEXT) | instid1(VALU_DEP_1)
	v_and_b32_e32 v9, 0xfffff, v14
                                        ; implicit-def: $vgpr14
	v_add_co_u32 v9, vcc_lo, v9, v19
	v_add_co_ci_u32_e32 v10, vcc_lo, 0, v20, vcc_lo
	v_cmpx_ne_u32_e32 0, v15
	s_xor_b32 s0, exec_lo, s0
; %bb.113:                              ;   in Loop: Header=BB10_29 Depth=1
	s_delay_alu instid0(VALU_DEP_3) | instskip(SKIP_1) | instid1(VALU_DEP_2)
	v_and_b32_e32 v17, 0x1000000, v9
	v_bfe_u32 v14, v9, 24, 1
	v_cmp_eq_u64_e32 vcc_lo, 0, v[17:18]
	s_delay_alu instid0(VALU_DEP_2)
	v_lshrrev_b64 v[9:10], v14, v[9:10]
	v_cndmask_b32_e32 v14, v13, v15, vcc_lo
; %bb.114:                              ;   in Loop: Header=BB10_29 Depth=1
	s_and_not1_saveexec_b32 s0, s0
; %bb.115:                              ;   in Loop: Header=BB10_29 Depth=1
	s_delay_alu instid0(VALU_DEP_2)
	v_bfe_u32 v14, v9, 23, 1
; %bb.116:                              ;   in Loop: Header=BB10_29 Depth=1
	s_or_b32 exec_lo, exec_lo, s0
	s_delay_alu instid0(VALU_DEP_3) | instskip(NEXT) | instid1(VALU_DEP_2)
	v_lshrrev_b64 v[9:10], 20, v[9:10]
	v_cmp_gt_i32_e32 vcc_lo, 16, v14
	v_cmp_ne_u32_e64 s0, 0, v14
                                        ; implicit-def: $vgpr13
	s_delay_alu instid0(VALU_DEP_3) | instskip(NEXT) | instid1(VALU_DEP_1)
	v_dual_cndmask_b32 v10, 0, v10 :: v_dual_cndmask_b32 v9, 7, v9
	v_cmp_ne_u64_e32 vcc_lo, 0, v[9:10]
	s_delay_alu instid0(VALU_DEP_3) | instskip(NEXT) | instid1(SALU_CYCLE_1)
	s_or_b32 s0, s0, vcc_lo
	s_and_saveexec_b32 s1, s0
	s_delay_alu instid0(SALU_CYCLE_1)
	s_xor_b32 s0, exec_lo, s1
; %bb.117:                              ;   in Loop: Header=BB10_29 Depth=1
	v_min_i32_e32 v10, 15, v14
	s_delay_alu instid0(VALU_DEP_1) | instskip(NEXT) | instid1(VALU_DEP_1)
	v_lshl_or_b32 v10, v10, 3, v11
                                        ; implicit-def: $vgpr11
	v_and_or_b32 v13, v9, 7, v10
; %bb.118:                              ;   in Loop: Header=BB10_29 Depth=1
	s_and_not1_saveexec_b32 s0, s0
; %bb.119:                              ;   in Loop: Header=BB10_29 Depth=1
	v_mov_b32_e32 v13, v11
; %bb.120:                              ;   in Loop: Header=BB10_29 Depth=1
	s_or_b32 exec_lo, exec_lo, s0
.LBB10_121:                             ;   in Loop: Header=BB10_29 Depth=1
	s_delay_alu instid0(SALU_CYCLE_1)
	s_or_b32 exec_lo, exec_lo, s16
.LBB10_122:                             ;   in Loop: Header=BB10_29 Depth=1
	s_and_not1_saveexec_b32 s0, s15
	s_delay_alu instid0(SALU_CYCLE_1)
	s_or_b32 exec_lo, exec_lo, s0
                                        ; implicit-def: $vgpr14
.LBB10_123:                             ;   in Loop: Header=BB10_29 Depth=1
	s_and_not1_saveexec_b32 s0, s14
; %bb.124:                              ;   in Loop: Header=BB10_29 Depth=1
	v_cmp_eq_u64_e32 vcc_lo, 0, v[17:18]
	v_or_b32_e32 v9, 0x7f, v14
	s_delay_alu instid0(VALU_DEP_1)
	v_cndmask_b32_e32 v13, v9, v13, vcc_lo
; %bb.125:                              ;   in Loop: Header=BB10_29 Depth=1
	s_or_b32 exec_lo, exec_lo, s0
	v_fma_mixlo_f16 v9, v21, v12, 0 op_sel_hi:[0,1,0]
	v_add_nc_u32_e32 v15, 5, v22
	s_mov_b32 s0, exec_lo
	v_mov_b32_e32 v20, v18
	s_delay_alu instid0(VALU_DEP_3) | instskip(SKIP_2) | instid1(VALU_DEP_1)
	v_mul_f16_e32 v9, v16, v9
	global_store_b8 v15, v13, s[2:3]
	v_cvt_f32_f16_e32 v9, v9
	v_mul_f32_e32 v9, v23, v9
	s_delay_alu instid0(VALU_DEP_1) | instskip(NEXT) | instid1(VALU_DEP_1)
	v_minmax_f32 v9, v9, s13, 0xc3e00000
	v_lshrrev_b32_e32 v14, 24, v9
	v_and_b32_e32 v19, 0x7f800000, v9
	v_and_b32_e32 v17, 0x7fffff, v9
	s_delay_alu instid0(VALU_DEP_3) | instskip(NEXT) | instid1(VALU_DEP_1)
	v_and_b32_e32 v11, 0x80, v14
	v_or_b32_e32 v10, 0x7e, v11
	s_delay_alu instid0(VALU_DEP_4)
	v_cmpx_ne_u64_e32 0x7f800000, v[19:20]
	s_xor_b32 s14, exec_lo, s0
	s_cbranch_execz .LBB10_139
; %bb.126:                              ;   in Loop: Header=BB10_29 Depth=1
	v_dual_mov_b32 v14, v18 :: v_dual_and_b32 v13, 0x7fffffff, v9
	s_mov_b32 s0, exec_lo
	s_delay_alu instid0(VALU_DEP_1)
	v_cmpx_gt_u64_e32 0x43e00001, v[13:14]
	s_xor_b32 s15, exec_lo, s0
	s_cbranch_execz .LBB10_138
; %bb.127:                              ;   in Loop: Header=BB10_29 Depth=1
	v_mov_b32_e32 v10, 0
	s_mov_b32 s16, exec_lo
	v_cmpx_ne_u32_e32 0, v9
	s_cbranch_execz .LBB10_137
; %bb.128:                              ;   in Loop: Header=BB10_29 Depth=1
	v_bfe_u32 v15, v9, 23, 8
	s_delay_alu instid0(VALU_DEP_1) | instskip(SKIP_2) | instid1(VALU_DEP_3)
	v_sub_nc_u32_e64 v9, 0x79, v15 clamp
	v_cmp_eq_u32_e32 vcc_lo, 0, v15
	v_add_nc_u32_e32 v15, 0xffffff88, v15
	v_cndmask_b32_e64 v25, v9, 0x78, vcc_lo
	v_or_b32_e32 v9, 0x800000, v17
	s_delay_alu instid0(VALU_DEP_2) | instskip(NEXT) | instid1(VALU_DEP_2)
	v_add_nc_u32_e32 v10, 20, v25
	v_cndmask_b32_e32 v17, v9, v17, vcc_lo
	v_add_nc_u32_e32 v13, 19, v25
	s_delay_alu instid0(VALU_DEP_3) | instskip(NEXT) | instid1(VALU_DEP_1)
	v_lshlrev_b64 v[9:10], v10, -1
	v_not_b32_e32 v14, v10
	s_delay_alu instid0(VALU_DEP_2) | instskip(NEXT) | instid1(VALU_DEP_4)
	v_not_b32_e32 v26, v9
	v_lshlrev_b64 v[9:10], v13, 1
	s_delay_alu instid0(VALU_DEP_3) | instskip(SKIP_1) | instid1(VALU_DEP_4)
	v_and_b32_e32 v14, 0, v14
	v_lshrrev_b64 v[19:20], v25, v[17:18]
	v_and_b32_e32 v13, v17, v26
	s_delay_alu instid0(VALU_DEP_1) | instskip(NEXT) | instid1(VALU_DEP_3)
	v_cmp_eq_u64_e64 s0, v[13:14], v[9:10]
	v_and_b32_e32 v17, 0x100000, v19
	v_cndmask_b32_e64 v9, v15, 0xffffff89, vcc_lo
	v_lshrrev_b32_e32 v10, 23, v19
	s_delay_alu instid0(VALU_DEP_3) | instskip(NEXT) | instid1(VALU_DEP_2)
	v_cmp_eq_u64_e64 s1, 0, v[17:18]
	v_add3_u32 v14, v9, v25, v10
	s_delay_alu instid0(VALU_DEP_2) | instskip(NEXT) | instid1(VALU_DEP_1)
	s_and_b32 vcc_lo, s1, s0
	v_add_nc_u32_e32 v15, -1, v14
	v_subrev_co_ci_u32_e32 v13, vcc_lo, 0, v19, vcc_lo
	s_mov_b32 s0, exec_lo
	s_delay_alu instid0(VALU_DEP_1) | instskip(NEXT) | instid1(VALU_DEP_1)
	v_and_b32_e32 v9, 0xfffff, v13
                                        ; implicit-def: $vgpr13
	v_add_co_u32 v9, vcc_lo, v9, v19
	v_add_co_ci_u32_e32 v10, vcc_lo, 0, v20, vcc_lo
	v_cmpx_ne_u32_e32 0, v15
	s_xor_b32 s0, exec_lo, s0
; %bb.129:                              ;   in Loop: Header=BB10_29 Depth=1
	s_delay_alu instid0(VALU_DEP_3) | instskip(SKIP_1) | instid1(VALU_DEP_2)
	v_and_b32_e32 v17, 0x1000000, v9
	v_bfe_u32 v13, v9, 24, 1
	v_cmp_eq_u64_e32 vcc_lo, 0, v[17:18]
	s_delay_alu instid0(VALU_DEP_2)
	v_lshrrev_b64 v[9:10], v13, v[9:10]
	v_cndmask_b32_e32 v13, v14, v15, vcc_lo
; %bb.130:                              ;   in Loop: Header=BB10_29 Depth=1
	s_and_not1_saveexec_b32 s0, s0
; %bb.131:                              ;   in Loop: Header=BB10_29 Depth=1
	s_delay_alu instid0(VALU_DEP_2)
	v_bfe_u32 v13, v9, 23, 1
; %bb.132:                              ;   in Loop: Header=BB10_29 Depth=1
	s_or_b32 exec_lo, exec_lo, s0
	s_delay_alu instid0(VALU_DEP_3) | instskip(NEXT) | instid1(VALU_DEP_2)
	v_lshrrev_b64 v[9:10], 20, v[9:10]
	v_cmp_gt_i32_e32 vcc_lo, 16, v13
	v_cmp_ne_u32_e64 s0, 0, v13
	s_delay_alu instid0(VALU_DEP_3) | instskip(NEXT) | instid1(VALU_DEP_1)
	v_dual_cndmask_b32 v10, 0, v10 :: v_dual_cndmask_b32 v9, 7, v9
	v_cmp_ne_u64_e32 vcc_lo, 0, v[9:10]
                                        ; implicit-def: $vgpr10
	s_delay_alu instid0(VALU_DEP_3) | instskip(NEXT) | instid1(SALU_CYCLE_1)
	s_or_b32 s0, s0, vcc_lo
	s_and_saveexec_b32 s1, s0
	s_delay_alu instid0(SALU_CYCLE_1)
	s_xor_b32 s0, exec_lo, s1
; %bb.133:                              ;   in Loop: Header=BB10_29 Depth=1
	v_min_i32_e32 v10, 15, v13
	s_delay_alu instid0(VALU_DEP_1) | instskip(NEXT) | instid1(VALU_DEP_1)
	v_lshl_or_b32 v10, v10, 3, v11
                                        ; implicit-def: $vgpr11
	v_and_or_b32 v10, v9, 7, v10
; %bb.134:                              ;   in Loop: Header=BB10_29 Depth=1
	s_and_not1_saveexec_b32 s0, s0
; %bb.135:                              ;   in Loop: Header=BB10_29 Depth=1
	v_mov_b32_e32 v10, v11
; %bb.136:                              ;   in Loop: Header=BB10_29 Depth=1
	s_or_b32 exec_lo, exec_lo, s0
.LBB10_137:                             ;   in Loop: Header=BB10_29 Depth=1
	s_delay_alu instid0(SALU_CYCLE_1)
	s_or_b32 exec_lo, exec_lo, s16
.LBB10_138:                             ;   in Loop: Header=BB10_29 Depth=1
	s_and_not1_saveexec_b32 s0, s15
	s_delay_alu instid0(SALU_CYCLE_1)
	s_or_b32 exec_lo, exec_lo, s0
                                        ; implicit-def: $vgpr14
.LBB10_139:                             ;   in Loop: Header=BB10_29 Depth=1
	s_and_not1_saveexec_b32 s0, s14
; %bb.140:                              ;   in Loop: Header=BB10_29 Depth=1
	v_cmp_eq_u64_e32 vcc_lo, 0, v[17:18]
	v_or_b32_e32 v9, 0x7f, v14
	s_delay_alu instid0(VALU_DEP_1)
	v_cndmask_b32_e32 v10, v9, v10, vcc_lo
; %bb.141:                              ;   in Loop: Header=BB10_29 Depth=1
	s_or_b32 exec_lo, exec_lo, s0
	v_lshrrev_b32_e32 v9, 16, v16
	v_fma_mixlo_f16 v11, v21, v12, 0 op_sel:[0,1,0] op_sel_hi:[0,1,0]
	s_mov_b32 s0, exec_lo
	v_dual_mov_b32 v15, v18 :: v_dual_add_nc_u32 v16, 6, v22
	s_delay_alu instid0(VALU_DEP_2) | instskip(SKIP_2) | instid1(VALU_DEP_1)
	v_mul_f16_e32 v9, v9, v11
	global_store_b8 v16, v10, s[2:3]
	v_cvt_f32_f16_e32 v9, v9
	v_mul_f32_e32 v9, v23, v9
	s_delay_alu instid0(VALU_DEP_1) | instskip(NEXT) | instid1(VALU_DEP_1)
	v_minmax_f32 v9, v9, s13, 0xc3e00000
	v_lshrrev_b32_e32 v13, 24, v9
	v_and_b32_e32 v14, 0x7f800000, v9
	v_and_b32_e32 v17, 0x7fffff, v9
	s_delay_alu instid0(VALU_DEP_3) | instskip(NEXT) | instid1(VALU_DEP_1)
	v_and_b32_e32 v11, 0x80, v13
	v_or_b32_e32 v12, 0x7e, v11
	s_delay_alu instid0(VALU_DEP_4)
	v_cmpx_ne_u64_e32 0x7f800000, v[14:15]
	s_xor_b32 s14, exec_lo, s0
	s_cbranch_execz .LBB10_155
; %bb.142:                              ;   in Loop: Header=BB10_29 Depth=1
	v_dual_mov_b32 v14, v18 :: v_dual_and_b32 v13, 0x7fffffff, v9
	s_mov_b32 s0, exec_lo
	s_delay_alu instid0(VALU_DEP_1)
	v_cmpx_gt_u64_e32 0x43e00001, v[13:14]
	s_xor_b32 s15, exec_lo, s0
	s_cbranch_execz .LBB10_154
; %bb.143:                              ;   in Loop: Header=BB10_29 Depth=1
	v_mov_b32_e32 v12, 0
	s_mov_b32 s16, exec_lo
	v_cmpx_ne_u32_e32 0, v9
	s_cbranch_execz .LBB10_153
; %bb.144:                              ;   in Loop: Header=BB10_29 Depth=1
	v_bfe_u32 v14, v9, 23, 8
	s_delay_alu instid0(VALU_DEP_1) | instskip(SKIP_2) | instid1(VALU_DEP_3)
	v_sub_nc_u32_e64 v9, 0x79, v14 clamp
	v_cmp_eq_u32_e32 vcc_lo, 0, v14
	v_add_nc_u32_e32 v14, 0xffffff88, v14
	v_cndmask_b32_e64 v19, v9, 0x78, vcc_lo
	v_or_b32_e32 v9, 0x800000, v17
	s_delay_alu instid0(VALU_DEP_1) | instskip(SKIP_1) | instid1(VALU_DEP_2)
	v_dual_cndmask_b32 v17, v9, v17 :: v_dual_add_nc_u32 v10, 20, v19
	v_add_nc_u32_e32 v12, 19, v19
	v_lshlrev_b64 v[9:10], v10, -1
	s_delay_alu instid0(VALU_DEP_3) | instskip(NEXT) | instid1(VALU_DEP_2)
	v_lshrrev_b64 v[15:16], v19, v[17:18]
	v_not_b32_e32 v13, v10
	s_delay_alu instid0(VALU_DEP_3) | instskip(SKIP_1) | instid1(VALU_DEP_3)
	v_not_b32_e32 v20, v9
	v_lshlrev_b64 v[9:10], v12, 1
	v_and_b32_e32 v13, 0, v13
	s_delay_alu instid0(VALU_DEP_3) | instskip(SKIP_1) | instid1(VALU_DEP_2)
	v_and_b32_e32 v12, v17, v20
	v_and_b32_e32 v17, 0x100000, v15
	v_cmp_eq_u64_e64 s0, v[12:13], v[9:10]
	s_delay_alu instid0(VALU_DEP_2) | instskip(SKIP_2) | instid1(VALU_DEP_3)
	v_cmp_eq_u64_e64 s1, 0, v[17:18]
	v_cndmask_b32_e64 v9, v14, 0xffffff89, vcc_lo
	v_lshrrev_b32_e32 v10, 23, v15
	s_and_b32 vcc_lo, s1, s0
	s_delay_alu instid0(VALU_DEP_1) | instskip(SKIP_2) | instid1(VALU_DEP_2)
	v_add3_u32 v12, v9, v19, v10
	v_subrev_co_ci_u32_e32 v13, vcc_lo, 0, v15, vcc_lo
	s_mov_b32 s0, exec_lo
	v_add_nc_u32_e32 v14, -1, v12
	s_delay_alu instid0(VALU_DEP_2) | instskip(NEXT) | instid1(VALU_DEP_1)
	v_and_b32_e32 v9, 0xfffff, v13
                                        ; implicit-def: $vgpr13
	v_add_co_u32 v9, vcc_lo, v9, v15
	v_add_co_ci_u32_e32 v10, vcc_lo, 0, v16, vcc_lo
	s_delay_alu instid0(VALU_DEP_4)
	v_cmpx_ne_u32_e32 0, v14
	s_xor_b32 s0, exec_lo, s0
; %bb.145:                              ;   in Loop: Header=BB10_29 Depth=1
	s_delay_alu instid0(VALU_DEP_3) | instskip(SKIP_1) | instid1(VALU_DEP_2)
	v_and_b32_e32 v17, 0x1000000, v9
	v_bfe_u32 v13, v9, 24, 1
	v_cmp_eq_u64_e32 vcc_lo, 0, v[17:18]
	s_delay_alu instid0(VALU_DEP_2)
	v_lshrrev_b64 v[9:10], v13, v[9:10]
	v_cndmask_b32_e32 v13, v12, v14, vcc_lo
; %bb.146:                              ;   in Loop: Header=BB10_29 Depth=1
	s_and_not1_saveexec_b32 s0, s0
; %bb.147:                              ;   in Loop: Header=BB10_29 Depth=1
	s_delay_alu instid0(VALU_DEP_2)
	v_bfe_u32 v13, v9, 23, 1
; %bb.148:                              ;   in Loop: Header=BB10_29 Depth=1
	s_or_b32 exec_lo, exec_lo, s0
	s_delay_alu instid0(VALU_DEP_3) | instskip(NEXT) | instid1(VALU_DEP_2)
	v_lshrrev_b64 v[9:10], 20, v[9:10]
	v_cmp_gt_i32_e32 vcc_lo, 16, v13
	v_cmp_ne_u32_e64 s0, 0, v13
                                        ; implicit-def: $vgpr12
	s_delay_alu instid0(VALU_DEP_3) | instskip(NEXT) | instid1(VALU_DEP_1)
	v_dual_cndmask_b32 v10, 0, v10 :: v_dual_cndmask_b32 v9, 7, v9
	v_cmp_ne_u64_e32 vcc_lo, 0, v[9:10]
	s_delay_alu instid0(VALU_DEP_3) | instskip(NEXT) | instid1(SALU_CYCLE_1)
	s_or_b32 s0, s0, vcc_lo
	s_and_saveexec_b32 s1, s0
	s_delay_alu instid0(SALU_CYCLE_1)
	s_xor_b32 s0, exec_lo, s1
; %bb.149:                              ;   in Loop: Header=BB10_29 Depth=1
	v_min_i32_e32 v10, 15, v13
	s_delay_alu instid0(VALU_DEP_1) | instskip(NEXT) | instid1(VALU_DEP_1)
	v_lshl_or_b32 v10, v10, 3, v11
                                        ; implicit-def: $vgpr11
	v_and_or_b32 v12, v9, 7, v10
; %bb.150:                              ;   in Loop: Header=BB10_29 Depth=1
	s_and_not1_saveexec_b32 s0, s0
; %bb.151:                              ;   in Loop: Header=BB10_29 Depth=1
	v_mov_b32_e32 v12, v11
; %bb.152:                              ;   in Loop: Header=BB10_29 Depth=1
	s_or_b32 exec_lo, exec_lo, s0
.LBB10_153:                             ;   in Loop: Header=BB10_29 Depth=1
	s_delay_alu instid0(SALU_CYCLE_1)
	s_or_b32 exec_lo, exec_lo, s16
.LBB10_154:                             ;   in Loop: Header=BB10_29 Depth=1
	s_and_not1_saveexec_b32 s0, s15
	s_delay_alu instid0(SALU_CYCLE_1)
	s_or_b32 exec_lo, exec_lo, s0
                                        ; implicit-def: $vgpr13
.LBB10_155:                             ;   in Loop: Header=BB10_29 Depth=1
	s_and_not1_saveexec_b32 s0, s14
; %bb.156:                              ;   in Loop: Header=BB10_29 Depth=1
	v_cmp_eq_u64_e32 vcc_lo, 0, v[17:18]
	v_or_b32_e32 v9, 0x7f, v13
	s_delay_alu instid0(VALU_DEP_1)
	v_cndmask_b32_e32 v12, v9, v12, vcc_lo
; %bb.157:                              ;   in Loop: Header=BB10_29 Depth=1
	s_or_b32 exec_lo, exec_lo, s0
	s_waitcnt vmcnt(1)
	v_fma_mixlo_f16 v9, v21, v1, 0 op_sel_hi:[0,1,0]
	s_mov_b32 s0, exec_lo
	v_dual_mov_b32 v15, v18 :: v_dual_add_nc_u32 v16, 7, v22
	s_waitcnt vmcnt(0)
	s_delay_alu instid0(VALU_DEP_2) | instskip(SKIP_2) | instid1(VALU_DEP_1)
	v_mul_f16_e32 v9, v5, v9
	global_store_b8 v16, v12, s[2:3]
	v_cvt_f32_f16_e32 v9, v9
	v_mul_f32_e32 v9, v23, v9
	s_delay_alu instid0(VALU_DEP_1) | instskip(NEXT) | instid1(VALU_DEP_1)
	v_minmax_f32 v9, v9, s13, 0xc3e00000
	v_lshrrev_b32_e32 v13, 24, v9
	v_and_b32_e32 v14, 0x7f800000, v9
	v_and_b32_e32 v17, 0x7fffff, v9
	s_delay_alu instid0(VALU_DEP_3) | instskip(NEXT) | instid1(VALU_DEP_1)
	v_and_b32_e32 v11, 0x80, v13
	v_or_b32_e32 v10, 0x7e, v11
	s_delay_alu instid0(VALU_DEP_4)
	v_cmpx_ne_u64_e32 0x7f800000, v[14:15]
	s_xor_b32 s14, exec_lo, s0
	s_cbranch_execz .LBB10_171
; %bb.158:                              ;   in Loop: Header=BB10_29 Depth=1
	v_dual_mov_b32 v13, v18 :: v_dual_and_b32 v12, 0x7fffffff, v9
	s_mov_b32 s0, exec_lo
	s_delay_alu instid0(VALU_DEP_1)
	v_cmpx_gt_u64_e32 0x43e00001, v[12:13]
	s_xor_b32 s15, exec_lo, s0
	s_cbranch_execz .LBB10_170
; %bb.159:                              ;   in Loop: Header=BB10_29 Depth=1
	v_mov_b32_e32 v10, 0
	s_mov_b32 s16, exec_lo
	v_cmpx_ne_u32_e32 0, v9
	s_cbranch_execz .LBB10_169
; %bb.160:                              ;   in Loop: Header=BB10_29 Depth=1
	v_bfe_u32 v14, v9, 23, 8
	s_delay_alu instid0(VALU_DEP_1) | instskip(SKIP_2) | instid1(VALU_DEP_3)
	v_sub_nc_u32_e64 v9, 0x79, v14 clamp
	v_cmp_eq_u32_e32 vcc_lo, 0, v14
	v_add_nc_u32_e32 v14, 0xffffff88, v14
	v_cndmask_b32_e64 v19, v9, 0x78, vcc_lo
	v_or_b32_e32 v9, 0x800000, v17
	s_delay_alu instid0(VALU_DEP_1) | instskip(SKIP_1) | instid1(VALU_DEP_2)
	v_dual_cndmask_b32 v17, v9, v17 :: v_dual_add_nc_u32 v10, 20, v19
	v_add_nc_u32_e32 v12, 19, v19
	v_lshlrev_b64 v[9:10], v10, -1
	s_delay_alu instid0(VALU_DEP_3) | instskip(NEXT) | instid1(VALU_DEP_2)
	v_lshrrev_b64 v[15:16], v19, v[17:18]
	v_not_b32_e32 v13, v10
	s_delay_alu instid0(VALU_DEP_3) | instskip(SKIP_1) | instid1(VALU_DEP_3)
	v_not_b32_e32 v20, v9
	v_lshlrev_b64 v[9:10], v12, 1
	v_and_b32_e32 v13, 0, v13
	s_delay_alu instid0(VALU_DEP_3) | instskip(SKIP_1) | instid1(VALU_DEP_2)
	v_and_b32_e32 v12, v17, v20
	v_and_b32_e32 v17, 0x100000, v15
	v_cmp_eq_u64_e64 s0, v[12:13], v[9:10]
	s_delay_alu instid0(VALU_DEP_2) | instskip(SKIP_2) | instid1(VALU_DEP_3)
	v_cmp_eq_u64_e64 s1, 0, v[17:18]
	v_cndmask_b32_e64 v9, v14, 0xffffff89, vcc_lo
	v_lshrrev_b32_e32 v10, 23, v15
	s_and_b32 vcc_lo, s1, s0
	s_delay_alu instid0(VALU_DEP_1) | instskip(SKIP_2) | instid1(VALU_DEP_2)
	v_add3_u32 v13, v9, v19, v10
	v_subrev_co_ci_u32_e32 v12, vcc_lo, 0, v15, vcc_lo
	s_mov_b32 s0, exec_lo
	v_add_nc_u32_e32 v14, -1, v13
	s_delay_alu instid0(VALU_DEP_2) | instskip(NEXT) | instid1(VALU_DEP_1)
	v_and_b32_e32 v9, 0xfffff, v12
                                        ; implicit-def: $vgpr12
	v_add_co_u32 v9, vcc_lo, v9, v15
	v_add_co_ci_u32_e32 v10, vcc_lo, 0, v16, vcc_lo
	s_delay_alu instid0(VALU_DEP_4)
	v_cmpx_ne_u32_e32 0, v14
	s_xor_b32 s0, exec_lo, s0
; %bb.161:                              ;   in Loop: Header=BB10_29 Depth=1
	s_delay_alu instid0(VALU_DEP_3) | instskip(SKIP_1) | instid1(VALU_DEP_2)
	v_and_b32_e32 v17, 0x1000000, v9
	v_bfe_u32 v12, v9, 24, 1
	v_cmp_eq_u64_e32 vcc_lo, 0, v[17:18]
	s_delay_alu instid0(VALU_DEP_2)
	v_lshrrev_b64 v[9:10], v12, v[9:10]
	v_cndmask_b32_e32 v12, v13, v14, vcc_lo
; %bb.162:                              ;   in Loop: Header=BB10_29 Depth=1
	s_and_not1_saveexec_b32 s0, s0
; %bb.163:                              ;   in Loop: Header=BB10_29 Depth=1
	s_delay_alu instid0(VALU_DEP_2)
	v_bfe_u32 v12, v9, 23, 1
; %bb.164:                              ;   in Loop: Header=BB10_29 Depth=1
	s_or_b32 exec_lo, exec_lo, s0
	s_delay_alu instid0(VALU_DEP_3) | instskip(NEXT) | instid1(VALU_DEP_2)
	v_lshrrev_b64 v[9:10], 20, v[9:10]
	v_cmp_gt_i32_e32 vcc_lo, 16, v12
	v_cmp_ne_u32_e64 s0, 0, v12
	s_delay_alu instid0(VALU_DEP_3) | instskip(NEXT) | instid1(VALU_DEP_1)
	v_dual_cndmask_b32 v10, 0, v10 :: v_dual_cndmask_b32 v9, 7, v9
	v_cmp_ne_u64_e32 vcc_lo, 0, v[9:10]
                                        ; implicit-def: $vgpr10
	s_delay_alu instid0(VALU_DEP_3) | instskip(NEXT) | instid1(SALU_CYCLE_1)
	s_or_b32 s0, s0, vcc_lo
	s_and_saveexec_b32 s1, s0
	s_delay_alu instid0(SALU_CYCLE_1)
	s_xor_b32 s0, exec_lo, s1
; %bb.165:                              ;   in Loop: Header=BB10_29 Depth=1
	v_min_i32_e32 v10, 15, v12
	s_delay_alu instid0(VALU_DEP_1) | instskip(NEXT) | instid1(VALU_DEP_1)
	v_lshl_or_b32 v10, v10, 3, v11
                                        ; implicit-def: $vgpr11
	v_and_or_b32 v10, v9, 7, v10
; %bb.166:                              ;   in Loop: Header=BB10_29 Depth=1
	s_and_not1_saveexec_b32 s0, s0
; %bb.167:                              ;   in Loop: Header=BB10_29 Depth=1
	v_mov_b32_e32 v10, v11
; %bb.168:                              ;   in Loop: Header=BB10_29 Depth=1
	s_or_b32 exec_lo, exec_lo, s0
.LBB10_169:                             ;   in Loop: Header=BB10_29 Depth=1
	s_delay_alu instid0(SALU_CYCLE_1)
	s_or_b32 exec_lo, exec_lo, s16
.LBB10_170:                             ;   in Loop: Header=BB10_29 Depth=1
	s_and_not1_saveexec_b32 s0, s15
	s_delay_alu instid0(SALU_CYCLE_1)
	s_or_b32 exec_lo, exec_lo, s0
                                        ; implicit-def: $vgpr13
.LBB10_171:                             ;   in Loop: Header=BB10_29 Depth=1
	s_and_not1_saveexec_b32 s0, s14
; %bb.172:                              ;   in Loop: Header=BB10_29 Depth=1
	v_cmp_eq_u64_e32 vcc_lo, 0, v[17:18]
	v_or_b32_e32 v9, 0x7f, v13
	s_delay_alu instid0(VALU_DEP_1)
	v_cndmask_b32_e32 v10, v9, v10, vcc_lo
; %bb.173:                              ;   in Loop: Header=BB10_29 Depth=1
	s_or_b32 exec_lo, exec_lo, s0
	v_lshrrev_b32_e32 v5, 16, v5
	v_fma_mixlo_f16 v1, v21, v1, 0 op_sel:[0,1,0] op_sel_hi:[0,1,0]
	s_mov_b32 s0, exec_lo
	v_dual_mov_b32 v13, v18 :: v_dual_add_nc_u32 v14, 8, v22
	s_delay_alu instid0(VALU_DEP_2) | instskip(SKIP_2) | instid1(VALU_DEP_1)
	v_mul_f16_e32 v1, v5, v1
	global_store_b8 v14, v10, s[2:3]
	v_cvt_f32_f16_e32 v1, v1
	v_mul_f32_e32 v1, v23, v1
	s_delay_alu instid0(VALU_DEP_1) | instskip(NEXT) | instid1(VALU_DEP_1)
	v_minmax_f32 v9, v1, s13, 0xc3e00000
	v_lshrrev_b32_e32 v11, 24, v9
	v_and_b32_e32 v12, 0x7f800000, v9
	v_and_b32_e32 v17, 0x7fffff, v9
	s_delay_alu instid0(VALU_DEP_3) | instskip(NEXT) | instid1(VALU_DEP_1)
	v_and_b32_e32 v1, 0x80, v11
	v_or_b32_e32 v5, 0x7e, v1
	s_delay_alu instid0(VALU_DEP_4)
	v_cmpx_ne_u64_e32 0x7f800000, v[12:13]
	s_xor_b32 s14, exec_lo, s0
	s_cbranch_execz .LBB10_187
; %bb.174:                              ;   in Loop: Header=BB10_29 Depth=1
	v_dual_mov_b32 v11, v18 :: v_dual_and_b32 v10, 0x7fffffff, v9
	s_mov_b32 s0, exec_lo
	s_delay_alu instid0(VALU_DEP_1)
	v_cmpx_gt_u64_e32 0x43e00001, v[10:11]
	s_xor_b32 s15, exec_lo, s0
	s_cbranch_execz .LBB10_186
; %bb.175:                              ;   in Loop: Header=BB10_29 Depth=1
	v_mov_b32_e32 v5, 0
	s_mov_b32 s16, exec_lo
	v_cmpx_ne_u32_e32 0, v9
	s_cbranch_execz .LBB10_185
; %bb.176:                              ;   in Loop: Header=BB10_29 Depth=1
	v_bfe_u32 v5, v9, 23, 8
	s_delay_alu instid0(VALU_DEP_1) | instskip(SKIP_2) | instid1(VALU_DEP_3)
	v_sub_nc_u32_e64 v9, 0x79, v5 clamp
	v_cmp_eq_u32_e32 vcc_lo, 0, v5
	v_add_nc_u32_e32 v5, 0xffffff88, v5
	v_cndmask_b32_e64 v15, v9, 0x78, vcc_lo
	v_or_b32_e32 v9, 0x800000, v17
	s_delay_alu instid0(VALU_DEP_3) | instskip(NEXT) | instid1(VALU_DEP_2)
	v_cndmask_b32_e64 v5, v5, 0xffffff89, vcc_lo
	v_dual_cndmask_b32 v17, v9, v17 :: v_dual_add_nc_u32 v10, 20, v15
	v_add_nc_u32_e32 v11, 19, v15
	s_delay_alu instid0(VALU_DEP_2) | instskip(NEXT) | instid1(VALU_DEP_3)
	v_lshlrev_b64 v[9:10], v10, -1
	v_lshrrev_b64 v[13:14], v15, v[17:18]
	s_delay_alu instid0(VALU_DEP_2) | instskip(NEXT) | instid1(VALU_DEP_3)
	v_not_b32_e32 v12, v10
	v_not_b32_e32 v16, v9
	v_lshlrev_b64 v[9:10], v11, 1
	s_delay_alu instid0(VALU_DEP_3) | instskip(NEXT) | instid1(VALU_DEP_3)
	v_and_b32_e32 v12, 0, v12
	v_and_b32_e32 v11, v17, v16
	;; [unrolled: 1-line block ×3, first 2 shown]
	s_delay_alu instid0(VALU_DEP_2) | instskip(NEXT) | instid1(VALU_DEP_2)
	v_cmp_eq_u64_e64 s0, v[11:12], v[9:10]
	v_cmp_eq_u64_e64 s1, 0, v[17:18]
	v_lshrrev_b32_e32 v9, 23, v13
                                        ; implicit-def: $vgpr11
	s_delay_alu instid0(VALU_DEP_1) | instskip(NEXT) | instid1(VALU_DEP_3)
	v_add3_u32 v5, v5, v15, v9
	s_and_b32 vcc_lo, s1, s0
	s_mov_b32 s0, exec_lo
	v_subrev_co_ci_u32_e32 v10, vcc_lo, 0, v13, vcc_lo
	s_delay_alu instid0(VALU_DEP_2) | instskip(NEXT) | instid1(VALU_DEP_2)
	v_add_nc_u32_e32 v12, -1, v5
	v_and_b32_e32 v9, 0xfffff, v10
	s_delay_alu instid0(VALU_DEP_1) | instskip(SKIP_1) | instid1(VALU_DEP_4)
	v_add_co_u32 v9, vcc_lo, v9, v13
	v_add_co_ci_u32_e32 v10, vcc_lo, 0, v14, vcc_lo
	v_cmpx_ne_u32_e32 0, v12
	s_xor_b32 s0, exec_lo, s0
; %bb.177:                              ;   in Loop: Header=BB10_29 Depth=1
	s_delay_alu instid0(VALU_DEP_3) | instskip(SKIP_1) | instid1(VALU_DEP_2)
	v_and_b32_e32 v17, 0x1000000, v9
	v_bfe_u32 v11, v9, 24, 1
	v_cmp_eq_u64_e32 vcc_lo, 0, v[17:18]
	s_delay_alu instid0(VALU_DEP_2)
	v_lshrrev_b64 v[9:10], v11, v[9:10]
	v_cndmask_b32_e32 v11, v5, v12, vcc_lo
; %bb.178:                              ;   in Loop: Header=BB10_29 Depth=1
	s_and_not1_saveexec_b32 s0, s0
; %bb.179:                              ;   in Loop: Header=BB10_29 Depth=1
	s_delay_alu instid0(VALU_DEP_2)
	v_bfe_u32 v11, v9, 23, 1
; %bb.180:                              ;   in Loop: Header=BB10_29 Depth=1
	s_or_b32 exec_lo, exec_lo, s0
	s_delay_alu instid0(VALU_DEP_3) | instskip(NEXT) | instid1(VALU_DEP_2)
	v_lshrrev_b64 v[9:10], 20, v[9:10]
	v_cmp_gt_i32_e32 vcc_lo, 16, v11
	v_cmp_ne_u32_e64 s0, 0, v11
                                        ; implicit-def: $vgpr5
	s_delay_alu instid0(VALU_DEP_3) | instskip(NEXT) | instid1(VALU_DEP_1)
	v_dual_cndmask_b32 v10, 0, v10 :: v_dual_cndmask_b32 v9, 7, v9
	v_cmp_ne_u64_e32 vcc_lo, 0, v[9:10]
	s_delay_alu instid0(VALU_DEP_3) | instskip(NEXT) | instid1(SALU_CYCLE_1)
	s_or_b32 s0, s0, vcc_lo
	s_and_saveexec_b32 s1, s0
	s_delay_alu instid0(SALU_CYCLE_1)
	s_xor_b32 s0, exec_lo, s1
; %bb.181:                              ;   in Loop: Header=BB10_29 Depth=1
	v_min_i32_e32 v5, 15, v11
	s_delay_alu instid0(VALU_DEP_1) | instskip(NEXT) | instid1(VALU_DEP_1)
	v_lshl_or_b32 v1, v5, 3, v1
	v_and_or_b32 v5, v9, 7, v1
                                        ; implicit-def: $vgpr1
; %bb.182:                              ;   in Loop: Header=BB10_29 Depth=1
	s_and_not1_saveexec_b32 s0, s0
; %bb.183:                              ;   in Loop: Header=BB10_29 Depth=1
	v_mov_b32_e32 v5, v1
; %bb.184:                              ;   in Loop: Header=BB10_29 Depth=1
	s_or_b32 exec_lo, exec_lo, s0
.LBB10_185:                             ;   in Loop: Header=BB10_29 Depth=1
	s_delay_alu instid0(SALU_CYCLE_1)
	s_or_b32 exec_lo, exec_lo, s16
.LBB10_186:                             ;   in Loop: Header=BB10_29 Depth=1
	s_and_not1_saveexec_b32 s0, s15
	s_delay_alu instid0(SALU_CYCLE_1)
	s_or_b32 exec_lo, exec_lo, s0
                                        ; implicit-def: $vgpr11
.LBB10_187:                             ;   in Loop: Header=BB10_29 Depth=1
	s_and_not1_saveexec_b32 s0, s14
; %bb.188:                              ;   in Loop: Header=BB10_29 Depth=1
	v_cmp_eq_u64_e32 vcc_lo, 0, v[17:18]
	v_or_b32_e32 v1, 0x7f, v11
	s_delay_alu instid0(VALU_DEP_1)
	v_cndmask_b32_e32 v5, v1, v5, vcc_lo
; %bb.189:                              ;   in Loop: Header=BB10_29 Depth=1
	s_or_b32 exec_lo, exec_lo, s0
	v_fma_mixlo_f16 v1, v21, v2, 0 op_sel_hi:[0,1,0]
	s_mov_b32 s0, exec_lo
	v_dual_mov_b32 v13, v18 :: v_dual_add_nc_u32 v14, 9, v22
	s_delay_alu instid0(VALU_DEP_2) | instskip(SKIP_2) | instid1(VALU_DEP_1)
	v_mul_f16_e32 v1, v6, v1
	global_store_b8 v14, v5, s[2:3]
	v_cvt_f32_f16_e32 v1, v1
	v_mul_f32_e32 v1, v23, v1
	s_delay_alu instid0(VALU_DEP_1) | instskip(NEXT) | instid1(VALU_DEP_1)
	v_minmax_f32 v9, v1, s13, 0xc3e00000
	v_lshrrev_b32_e32 v11, 24, v9
	v_and_b32_e32 v12, 0x7f800000, v9
	v_and_b32_e32 v17, 0x7fffff, v9
	s_delay_alu instid0(VALU_DEP_3) | instskip(NEXT) | instid1(VALU_DEP_1)
	v_and_b32_e32 v1, 0x80, v11
	v_or_b32_e32 v10, 0x7e, v1
	s_delay_alu instid0(VALU_DEP_4)
	v_cmpx_ne_u64_e32 0x7f800000, v[12:13]
	s_xor_b32 s14, exec_lo, s0
	s_cbranch_execz .LBB10_203
; %bb.190:                              ;   in Loop: Header=BB10_29 Depth=1
	v_dual_mov_b32 v12, v18 :: v_dual_and_b32 v11, 0x7fffffff, v9
	s_mov_b32 s0, exec_lo
	s_delay_alu instid0(VALU_DEP_1)
	v_cmpx_gt_u64_e32 0x43e00001, v[11:12]
	s_xor_b32 s15, exec_lo, s0
	s_cbranch_execz .LBB10_202
; %bb.191:                              ;   in Loop: Header=BB10_29 Depth=1
	v_mov_b32_e32 v10, 0
	s_mov_b32 s16, exec_lo
	v_cmpx_ne_u32_e32 0, v9
	s_cbranch_execz .LBB10_201
; %bb.192:                              ;   in Loop: Header=BB10_29 Depth=1
	v_bfe_u32 v5, v9, 23, 8
	s_delay_alu instid0(VALU_DEP_1) | instskip(SKIP_2) | instid1(VALU_DEP_3)
	v_sub_nc_u32_e64 v9, 0x79, v5 clamp
	v_cmp_eq_u32_e32 vcc_lo, 0, v5
	v_add_nc_u32_e32 v5, 0xffffff88, v5
	v_cndmask_b32_e64 v15, v9, 0x78, vcc_lo
	v_or_b32_e32 v9, 0x800000, v17
	s_delay_alu instid0(VALU_DEP_3) | instskip(NEXT) | instid1(VALU_DEP_2)
	v_cndmask_b32_e64 v5, v5, 0xffffff89, vcc_lo
	v_dual_cndmask_b32 v17, v9, v17 :: v_dual_add_nc_u32 v10, 20, v15
	v_add_nc_u32_e32 v11, 19, v15
	s_delay_alu instid0(VALU_DEP_2) | instskip(NEXT) | instid1(VALU_DEP_3)
	v_lshlrev_b64 v[9:10], v10, -1
	v_lshrrev_b64 v[13:14], v15, v[17:18]
	s_delay_alu instid0(VALU_DEP_2) | instskip(NEXT) | instid1(VALU_DEP_3)
	v_not_b32_e32 v12, v10
	v_not_b32_e32 v16, v9
	v_lshlrev_b64 v[9:10], v11, 1
	s_delay_alu instid0(VALU_DEP_3) | instskip(NEXT) | instid1(VALU_DEP_3)
	v_and_b32_e32 v12, 0, v12
	v_and_b32_e32 v11, v17, v16
	;; [unrolled: 1-line block ×3, first 2 shown]
	s_delay_alu instid0(VALU_DEP_2) | instskip(NEXT) | instid1(VALU_DEP_2)
	v_cmp_eq_u64_e64 s0, v[11:12], v[9:10]
	v_cmp_eq_u64_e64 s1, 0, v[17:18]
	v_lshrrev_b32_e32 v9, 23, v13
	s_delay_alu instid0(VALU_DEP_1) | instskip(NEXT) | instid1(VALU_DEP_3)
	v_add3_u32 v11, v5, v15, v9
	s_and_b32 vcc_lo, s1, s0
	s_mov_b32 s0, exec_lo
	v_subrev_co_ci_u32_e32 v10, vcc_lo, 0, v13, vcc_lo
	s_delay_alu instid0(VALU_DEP_2) | instskip(NEXT) | instid1(VALU_DEP_2)
	v_add_nc_u32_e32 v12, -1, v11
	v_and_b32_e32 v5, 0xfffff, v10
	s_delay_alu instid0(VALU_DEP_1) | instskip(SKIP_1) | instid1(VALU_DEP_4)
	v_add_co_u32 v9, vcc_lo, v5, v13
	v_add_co_ci_u32_e32 v10, vcc_lo, 0, v14, vcc_lo
                                        ; implicit-def: $vgpr5
	v_cmpx_ne_u32_e32 0, v12
	s_xor_b32 s0, exec_lo, s0
; %bb.193:                              ;   in Loop: Header=BB10_29 Depth=1
	s_delay_alu instid0(VALU_DEP_3) | instskip(SKIP_1) | instid1(VALU_DEP_2)
	v_and_b32_e32 v17, 0x1000000, v9
	v_bfe_u32 v5, v9, 24, 1
	v_cmp_eq_u64_e32 vcc_lo, 0, v[17:18]
	s_delay_alu instid0(VALU_DEP_2)
	v_lshrrev_b64 v[9:10], v5, v[9:10]
	v_cndmask_b32_e32 v5, v11, v12, vcc_lo
; %bb.194:                              ;   in Loop: Header=BB10_29 Depth=1
	s_and_not1_saveexec_b32 s0, s0
; %bb.195:                              ;   in Loop: Header=BB10_29 Depth=1
	s_delay_alu instid0(VALU_DEP_2)
	v_bfe_u32 v5, v9, 23, 1
; %bb.196:                              ;   in Loop: Header=BB10_29 Depth=1
	s_or_b32 exec_lo, exec_lo, s0
	s_delay_alu instid0(VALU_DEP_3) | instskip(NEXT) | instid1(VALU_DEP_2)
	v_lshrrev_b64 v[9:10], 20, v[9:10]
	v_cmp_gt_i32_e32 vcc_lo, 16, v5
	v_cmp_ne_u32_e64 s0, 0, v5
	s_delay_alu instid0(VALU_DEP_3) | instskip(NEXT) | instid1(VALU_DEP_1)
	v_dual_cndmask_b32 v10, 0, v10 :: v_dual_cndmask_b32 v9, 7, v9
	v_cmp_ne_u64_e32 vcc_lo, 0, v[9:10]
                                        ; implicit-def: $vgpr10
	s_delay_alu instid0(VALU_DEP_3) | instskip(NEXT) | instid1(SALU_CYCLE_1)
	s_or_b32 s0, s0, vcc_lo
	s_and_saveexec_b32 s1, s0
	s_delay_alu instid0(SALU_CYCLE_1)
	s_xor_b32 s0, exec_lo, s1
; %bb.197:                              ;   in Loop: Header=BB10_29 Depth=1
	v_min_i32_e32 v5, 15, v5
	s_delay_alu instid0(VALU_DEP_1) | instskip(NEXT) | instid1(VALU_DEP_1)
	v_lshl_or_b32 v1, v5, 3, v1
	v_and_or_b32 v10, v9, 7, v1
                                        ; implicit-def: $vgpr1
; %bb.198:                              ;   in Loop: Header=BB10_29 Depth=1
	s_and_not1_saveexec_b32 s0, s0
; %bb.199:                              ;   in Loop: Header=BB10_29 Depth=1
	v_mov_b32_e32 v10, v1
; %bb.200:                              ;   in Loop: Header=BB10_29 Depth=1
	s_or_b32 exec_lo, exec_lo, s0
.LBB10_201:                             ;   in Loop: Header=BB10_29 Depth=1
	s_delay_alu instid0(SALU_CYCLE_1)
	s_or_b32 exec_lo, exec_lo, s16
.LBB10_202:                             ;   in Loop: Header=BB10_29 Depth=1
	s_and_not1_saveexec_b32 s0, s15
	s_delay_alu instid0(SALU_CYCLE_1)
	s_or_b32 exec_lo, exec_lo, s0
                                        ; implicit-def: $vgpr11
.LBB10_203:                             ;   in Loop: Header=BB10_29 Depth=1
	s_and_not1_saveexec_b32 s0, s14
; %bb.204:                              ;   in Loop: Header=BB10_29 Depth=1
	v_cmp_eq_u64_e32 vcc_lo, 0, v[17:18]
	v_or_b32_e32 v1, 0x7f, v11
	s_delay_alu instid0(VALU_DEP_1)
	v_cndmask_b32_e32 v10, v1, v10, vcc_lo
; %bb.205:                              ;   in Loop: Header=BB10_29 Depth=1
	s_or_b32 exec_lo, exec_lo, s0
	v_lshrrev_b32_e32 v1, 16, v6
	v_fma_mixlo_f16 v2, v21, v2, 0 op_sel:[0,1,0] op_sel_hi:[0,1,0]
	v_add_nc_u32_e32 v9, 10, v22
	s_mov_b32 s0, exec_lo
	v_mov_b32_e32 v12, v18
	s_delay_alu instid0(VALU_DEP_3) | instskip(SKIP_2) | instid1(VALU_DEP_1)
	v_mul_f16_e32 v1, v1, v2
	global_store_b8 v9, v10, s[2:3]
	v_cvt_f32_f16_e32 v1, v1
	v_mul_f32_e32 v1, v23, v1
	s_delay_alu instid0(VALU_DEP_1) | instskip(NEXT) | instid1(VALU_DEP_1)
	v_minmax_f32 v1, v1, s13, 0xc3e00000
	v_lshrrev_b32_e32 v2, 24, v1
	v_and_b32_e32 v11, 0x7f800000, v1
	v_and_b32_e32 v17, 0x7fffff, v1
	s_delay_alu instid0(VALU_DEP_3) | instskip(NEXT) | instid1(VALU_DEP_1)
	v_and_b32_e32 v5, 0x80, v2
	v_or_b32_e32 v6, 0x7e, v5
	s_delay_alu instid0(VALU_DEP_4)
	v_cmpx_ne_u64_e32 0x7f800000, v[11:12]
	s_xor_b32 s14, exec_lo, s0
	s_cbranch_execz .LBB10_219
; %bb.206:                              ;   in Loop: Header=BB10_29 Depth=1
	v_dual_mov_b32 v10, v18 :: v_dual_and_b32 v9, 0x7fffffff, v1
	s_mov_b32 s0, exec_lo
	s_delay_alu instid0(VALU_DEP_1)
	v_cmpx_gt_u64_e32 0x43e00001, v[9:10]
	s_xor_b32 s15, exec_lo, s0
	s_cbranch_execz .LBB10_218
; %bb.207:                              ;   in Loop: Header=BB10_29 Depth=1
	v_mov_b32_e32 v6, 0
	s_mov_b32 s16, exec_lo
	v_cmpx_ne_u32_e32 0, v1
	s_cbranch_execz .LBB10_217
; %bb.208:                              ;   in Loop: Header=BB10_29 Depth=1
	v_bfe_u32 v6, v1, 23, 8
	s_delay_alu instid0(VALU_DEP_1) | instskip(SKIP_2) | instid1(VALU_DEP_3)
	v_sub_nc_u32_e64 v1, 0x79, v6 clamp
	v_cmp_eq_u32_e32 vcc_lo, 0, v6
	v_add_nc_u32_e32 v6, 0xffffff88, v6
	v_cndmask_b32_e64 v13, v1, 0x78, vcc_lo
	v_or_b32_e32 v1, 0x800000, v17
	s_delay_alu instid0(VALU_DEP_2) | instskip(NEXT) | instid1(VALU_DEP_2)
	v_add_nc_u32_e32 v2, 20, v13
	v_cndmask_b32_e32 v17, v1, v17, vcc_lo
	v_add_nc_u32_e32 v9, 19, v13
	s_delay_alu instid0(VALU_DEP_3) | instskip(NEXT) | instid1(VALU_DEP_1)
	v_lshlrev_b64 v[1:2], v2, -1
	v_not_b32_e32 v10, v2
	s_delay_alu instid0(VALU_DEP_2) | instskip(NEXT) | instid1(VALU_DEP_4)
	v_not_b32_e32 v14, v1
	v_lshlrev_b64 v[1:2], v9, 1
	s_delay_alu instid0(VALU_DEP_3) | instskip(SKIP_1) | instid1(VALU_DEP_4)
	v_and_b32_e32 v10, 0, v10
	v_lshrrev_b64 v[11:12], v13, v[17:18]
	v_and_b32_e32 v9, v17, v14
	s_delay_alu instid0(VALU_DEP_1) | instskip(NEXT) | instid1(VALU_DEP_3)
	v_cmp_eq_u64_e64 s0, v[9:10], v[1:2]
	v_and_b32_e32 v17, 0x100000, v11
	v_cndmask_b32_e64 v1, v6, 0xffffff89, vcc_lo
	v_lshrrev_b32_e32 v2, 23, v11
	s_delay_alu instid0(VALU_DEP_3) | instskip(NEXT) | instid1(VALU_DEP_2)
	v_cmp_eq_u64_e64 s1, 0, v[17:18]
	v_add3_u32 v6, v1, v13, v2
	s_delay_alu instid0(VALU_DEP_2) | instskip(NEXT) | instid1(VALU_DEP_1)
	s_and_b32 vcc_lo, s1, s0
	v_add_nc_u32_e32 v10, -1, v6
	v_subrev_co_ci_u32_e32 v9, vcc_lo, 0, v11, vcc_lo
	s_mov_b32 s0, exec_lo
	s_delay_alu instid0(VALU_DEP_1) | instskip(NEXT) | instid1(VALU_DEP_1)
	v_and_b32_e32 v1, 0xfffff, v9
                                        ; implicit-def: $vgpr9
	v_add_co_u32 v1, vcc_lo, v1, v11
	v_add_co_ci_u32_e32 v2, vcc_lo, 0, v12, vcc_lo
	v_cmpx_ne_u32_e32 0, v10
	s_xor_b32 s0, exec_lo, s0
; %bb.209:                              ;   in Loop: Header=BB10_29 Depth=1
	s_delay_alu instid0(VALU_DEP_3) | instskip(SKIP_1) | instid1(VALU_DEP_2)
	v_and_b32_e32 v17, 0x1000000, v1
	v_bfe_u32 v9, v1, 24, 1
	v_cmp_eq_u64_e32 vcc_lo, 0, v[17:18]
	s_delay_alu instid0(VALU_DEP_2)
	v_lshrrev_b64 v[1:2], v9, v[1:2]
	v_cndmask_b32_e32 v9, v6, v10, vcc_lo
; %bb.210:                              ;   in Loop: Header=BB10_29 Depth=1
	s_and_not1_saveexec_b32 s0, s0
; %bb.211:                              ;   in Loop: Header=BB10_29 Depth=1
	s_delay_alu instid0(VALU_DEP_2)
	v_bfe_u32 v9, v1, 23, 1
; %bb.212:                              ;   in Loop: Header=BB10_29 Depth=1
	s_or_b32 exec_lo, exec_lo, s0
	s_delay_alu instid0(VALU_DEP_3) | instskip(NEXT) | instid1(VALU_DEP_2)
	v_lshrrev_b64 v[1:2], 20, v[1:2]
	v_cmp_gt_i32_e32 vcc_lo, 16, v9
	v_cmp_ne_u32_e64 s0, 0, v9
                                        ; implicit-def: $vgpr6
	s_delay_alu instid0(VALU_DEP_3) | instskip(NEXT) | instid1(VALU_DEP_1)
	v_dual_cndmask_b32 v2, 0, v2 :: v_dual_cndmask_b32 v1, 7, v1
	v_cmp_ne_u64_e32 vcc_lo, 0, v[1:2]
	s_delay_alu instid0(VALU_DEP_3) | instskip(NEXT) | instid1(SALU_CYCLE_1)
	s_or_b32 s0, s0, vcc_lo
	s_and_saveexec_b32 s1, s0
	s_delay_alu instid0(SALU_CYCLE_1)
	s_xor_b32 s0, exec_lo, s1
; %bb.213:                              ;   in Loop: Header=BB10_29 Depth=1
	v_min_i32_e32 v2, 15, v9
	s_delay_alu instid0(VALU_DEP_1) | instskip(NEXT) | instid1(VALU_DEP_1)
	v_lshl_or_b32 v2, v2, 3, v5
                                        ; implicit-def: $vgpr5
	v_and_or_b32 v6, v1, 7, v2
; %bb.214:                              ;   in Loop: Header=BB10_29 Depth=1
	s_and_not1_saveexec_b32 s0, s0
; %bb.215:                              ;   in Loop: Header=BB10_29 Depth=1
	v_mov_b32_e32 v6, v5
; %bb.216:                              ;   in Loop: Header=BB10_29 Depth=1
	s_or_b32 exec_lo, exec_lo, s0
.LBB10_217:                             ;   in Loop: Header=BB10_29 Depth=1
	s_delay_alu instid0(SALU_CYCLE_1)
	s_or_b32 exec_lo, exec_lo, s16
.LBB10_218:                             ;   in Loop: Header=BB10_29 Depth=1
	s_and_not1_saveexec_b32 s0, s15
	s_delay_alu instid0(SALU_CYCLE_1)
	s_or_b32 exec_lo, exec_lo, s0
                                        ; implicit-def: $vgpr2
.LBB10_219:                             ;   in Loop: Header=BB10_29 Depth=1
	s_and_not1_saveexec_b32 s0, s14
; %bb.220:                              ;   in Loop: Header=BB10_29 Depth=1
	v_cmp_eq_u64_e32 vcc_lo, 0, v[17:18]
	v_or_b32_e32 v1, 0x7f, v2
	s_delay_alu instid0(VALU_DEP_1)
	v_cndmask_b32_e32 v6, v1, v6, vcc_lo
; %bb.221:                              ;   in Loop: Header=BB10_29 Depth=1
	s_or_b32 exec_lo, exec_lo, s0
	v_fma_mixlo_f16 v1, v21, v3, 0 op_sel_hi:[0,1,0]
	s_mov_b32 s0, exec_lo
	v_dual_mov_b32 v11, v18 :: v_dual_add_nc_u32 v12, 11, v22
	s_delay_alu instid0(VALU_DEP_2) | instskip(SKIP_2) | instid1(VALU_DEP_1)
	v_mul_f16_e32 v1, v7, v1
	global_store_b8 v12, v6, s[2:3]
	v_cvt_f32_f16_e32 v1, v1
	v_mul_f32_e32 v1, v23, v1
	s_delay_alu instid0(VALU_DEP_1) | instskip(NEXT) | instid1(VALU_DEP_1)
	v_minmax_f32 v1, v1, s13, 0xc3e00000
	v_lshrrev_b32_e32 v9, 24, v1
	v_and_b32_e32 v10, 0x7f800000, v1
	v_and_b32_e32 v17, 0x7fffff, v1
	s_delay_alu instid0(VALU_DEP_3) | instskip(NEXT) | instid1(VALU_DEP_1)
	v_and_b32_e32 v5, 0x80, v9
	v_or_b32_e32 v2, 0x7e, v5
	s_delay_alu instid0(VALU_DEP_4)
	v_cmpx_ne_u64_e32 0x7f800000, v[10:11]
	s_xor_b32 s14, exec_lo, s0
	s_cbranch_execz .LBB10_235
; %bb.222:                              ;   in Loop: Header=BB10_29 Depth=1
	v_dual_mov_b32 v10, v18 :: v_dual_and_b32 v9, 0x7fffffff, v1
	s_mov_b32 s0, exec_lo
	s_delay_alu instid0(VALU_DEP_1)
	v_cmpx_gt_u64_e32 0x43e00001, v[9:10]
	s_xor_b32 s15, exec_lo, s0
	s_cbranch_execz .LBB10_234
; %bb.223:                              ;   in Loop: Header=BB10_29 Depth=1
	v_mov_b32_e32 v2, 0
	s_mov_b32 s16, exec_lo
	v_cmpx_ne_u32_e32 0, v1
	s_cbranch_execz .LBB10_233
; %bb.224:                              ;   in Loop: Header=BB10_29 Depth=1
	v_bfe_u32 v6, v1, 23, 8
	s_delay_alu instid0(VALU_DEP_1) | instskip(SKIP_2) | instid1(VALU_DEP_3)
	v_sub_nc_u32_e64 v1, 0x79, v6 clamp
	v_cmp_eq_u32_e32 vcc_lo, 0, v6
	v_add_nc_u32_e32 v6, 0xffffff88, v6
	v_cndmask_b32_e64 v13, v1, 0x78, vcc_lo
	v_or_b32_e32 v1, 0x800000, v17
	s_delay_alu instid0(VALU_DEP_2) | instskip(NEXT) | instid1(VALU_DEP_2)
	v_add_nc_u32_e32 v2, 20, v13
	v_cndmask_b32_e32 v17, v1, v17, vcc_lo
	v_add_nc_u32_e32 v9, 19, v13
	s_delay_alu instid0(VALU_DEP_3) | instskip(NEXT) | instid1(VALU_DEP_1)
	v_lshlrev_b64 v[1:2], v2, -1
	v_not_b32_e32 v10, v2
	s_delay_alu instid0(VALU_DEP_2) | instskip(NEXT) | instid1(VALU_DEP_4)
	v_not_b32_e32 v14, v1
	v_lshlrev_b64 v[1:2], v9, 1
	s_delay_alu instid0(VALU_DEP_3) | instskip(SKIP_1) | instid1(VALU_DEP_4)
	v_and_b32_e32 v10, 0, v10
	v_lshrrev_b64 v[11:12], v13, v[17:18]
	v_and_b32_e32 v9, v17, v14
	s_delay_alu instid0(VALU_DEP_1) | instskip(NEXT) | instid1(VALU_DEP_3)
	v_cmp_eq_u64_e64 s0, v[9:10], v[1:2]
	v_and_b32_e32 v17, 0x100000, v11
	v_cndmask_b32_e64 v1, v6, 0xffffff89, vcc_lo
	v_lshrrev_b32_e32 v2, 23, v11
	s_delay_alu instid0(VALU_DEP_3) | instskip(NEXT) | instid1(VALU_DEP_2)
	v_cmp_eq_u64_e64 s1, 0, v[17:18]
	v_add3_u32 v9, v1, v13, v2
	s_delay_alu instid0(VALU_DEP_2) | instskip(NEXT) | instid1(VALU_DEP_1)
	s_and_b32 vcc_lo, s1, s0
	v_add_nc_u32_e32 v10, -1, v9
	v_subrev_co_ci_u32_e32 v6, vcc_lo, 0, v11, vcc_lo
	s_mov_b32 s0, exec_lo
	s_delay_alu instid0(VALU_DEP_1) | instskip(NEXT) | instid1(VALU_DEP_1)
	v_and_b32_e32 v1, 0xfffff, v6
                                        ; implicit-def: $vgpr6
	v_add_co_u32 v1, vcc_lo, v1, v11
	v_add_co_ci_u32_e32 v2, vcc_lo, 0, v12, vcc_lo
	v_cmpx_ne_u32_e32 0, v10
	s_xor_b32 s0, exec_lo, s0
; %bb.225:                              ;   in Loop: Header=BB10_29 Depth=1
	s_delay_alu instid0(VALU_DEP_3) | instskip(SKIP_1) | instid1(VALU_DEP_2)
	v_and_b32_e32 v17, 0x1000000, v1
	v_bfe_u32 v6, v1, 24, 1
	v_cmp_eq_u64_e32 vcc_lo, 0, v[17:18]
	s_delay_alu instid0(VALU_DEP_2)
	v_lshrrev_b64 v[1:2], v6, v[1:2]
	v_cndmask_b32_e32 v6, v9, v10, vcc_lo
; %bb.226:                              ;   in Loop: Header=BB10_29 Depth=1
	s_and_not1_saveexec_b32 s0, s0
; %bb.227:                              ;   in Loop: Header=BB10_29 Depth=1
	s_delay_alu instid0(VALU_DEP_2)
	v_bfe_u32 v6, v1, 23, 1
; %bb.228:                              ;   in Loop: Header=BB10_29 Depth=1
	s_or_b32 exec_lo, exec_lo, s0
	s_delay_alu instid0(VALU_DEP_3) | instskip(NEXT) | instid1(VALU_DEP_2)
	v_lshrrev_b64 v[1:2], 20, v[1:2]
	v_cmp_gt_i32_e32 vcc_lo, 16, v6
	v_cmp_ne_u32_e64 s0, 0, v6
	s_delay_alu instid0(VALU_DEP_3) | instskip(NEXT) | instid1(VALU_DEP_1)
	v_dual_cndmask_b32 v2, 0, v2 :: v_dual_cndmask_b32 v1, 7, v1
	v_cmp_ne_u64_e32 vcc_lo, 0, v[1:2]
                                        ; implicit-def: $vgpr2
	s_delay_alu instid0(VALU_DEP_3) | instskip(NEXT) | instid1(SALU_CYCLE_1)
	s_or_b32 s0, s0, vcc_lo
	s_and_saveexec_b32 s1, s0
	s_delay_alu instid0(SALU_CYCLE_1)
	s_xor_b32 s0, exec_lo, s1
; %bb.229:                              ;   in Loop: Header=BB10_29 Depth=1
	v_min_i32_e32 v2, 15, v6
	s_delay_alu instid0(VALU_DEP_1) | instskip(NEXT) | instid1(VALU_DEP_1)
	v_lshl_or_b32 v2, v2, 3, v5
                                        ; implicit-def: $vgpr5
	v_and_or_b32 v2, v1, 7, v2
; %bb.230:                              ;   in Loop: Header=BB10_29 Depth=1
	s_and_not1_saveexec_b32 s0, s0
; %bb.231:                              ;   in Loop: Header=BB10_29 Depth=1
	v_mov_b32_e32 v2, v5
; %bb.232:                              ;   in Loop: Header=BB10_29 Depth=1
	s_or_b32 exec_lo, exec_lo, s0
.LBB10_233:                             ;   in Loop: Header=BB10_29 Depth=1
	s_delay_alu instid0(SALU_CYCLE_1)
	s_or_b32 exec_lo, exec_lo, s16
.LBB10_234:                             ;   in Loop: Header=BB10_29 Depth=1
	s_and_not1_saveexec_b32 s0, s15
	s_delay_alu instid0(SALU_CYCLE_1)
	s_or_b32 exec_lo, exec_lo, s0
                                        ; implicit-def: $vgpr9
.LBB10_235:                             ;   in Loop: Header=BB10_29 Depth=1
	s_and_not1_saveexec_b32 s0, s14
; %bb.236:                              ;   in Loop: Header=BB10_29 Depth=1
	v_cmp_eq_u64_e32 vcc_lo, 0, v[17:18]
	v_or_b32_e32 v1, 0x7f, v9
	s_delay_alu instid0(VALU_DEP_1)
	v_cndmask_b32_e32 v2, v1, v2, vcc_lo
; %bb.237:                              ;   in Loop: Header=BB10_29 Depth=1
	s_or_b32 exec_lo, exec_lo, s0
	v_lshrrev_b32_e32 v1, 16, v7
	v_fma_mixlo_f16 v3, v21, v3, 0 op_sel:[0,1,0] op_sel_hi:[0,1,0]
	v_add_nc_u32_e32 v7, 12, v22
	s_mov_b32 s0, exec_lo
	v_mov_b32_e32 v10, v18
	s_delay_alu instid0(VALU_DEP_3) | instskip(SKIP_2) | instid1(VALU_DEP_1)
	v_mul_f16_e32 v1, v1, v3
	global_store_b8 v7, v2, s[2:3]
	v_cvt_f32_f16_e32 v1, v1
	v_mul_f32_e32 v1, v23, v1
	s_delay_alu instid0(VALU_DEP_1) | instskip(NEXT) | instid1(VALU_DEP_1)
	v_minmax_f32 v1, v1, s13, 0xc3e00000
	v_lshrrev_b32_e32 v6, 24, v1
	v_and_b32_e32 v9, 0x7f800000, v1
	v_and_b32_e32 v17, 0x7fffff, v1
	s_delay_alu instid0(VALU_DEP_3) | instskip(NEXT) | instid1(VALU_DEP_1)
	v_and_b32_e32 v3, 0x80, v6
	v_or_b32_e32 v5, 0x7e, v3
	s_delay_alu instid0(VALU_DEP_4)
	v_cmpx_ne_u64_e32 0x7f800000, v[9:10]
	s_xor_b32 s14, exec_lo, s0
	s_cbranch_execz .LBB10_251
; %bb.238:                              ;   in Loop: Header=BB10_29 Depth=1
	v_dual_mov_b32 v7, v18 :: v_dual_and_b32 v6, 0x7fffffff, v1
	s_mov_b32 s0, exec_lo
	s_delay_alu instid0(VALU_DEP_1)
	v_cmpx_gt_u64_e32 0x43e00001, v[6:7]
	s_xor_b32 s15, exec_lo, s0
	s_cbranch_execz .LBB10_250
; %bb.239:                              ;   in Loop: Header=BB10_29 Depth=1
	v_mov_b32_e32 v5, 0
	s_mov_b32 s16, exec_lo
	v_cmpx_ne_u32_e32 0, v1
	s_cbranch_execz .LBB10_249
; %bb.240:                              ;   in Loop: Header=BB10_29 Depth=1
	v_bfe_u32 v7, v1, 23, 8
	s_delay_alu instid0(VALU_DEP_1) | instskip(SKIP_2) | instid1(VALU_DEP_3)
	v_sub_nc_u32_e64 v1, 0x79, v7 clamp
	v_cmp_eq_u32_e32 vcc_lo, 0, v7
	v_add_nc_u32_e32 v7, 0xffffff88, v7
	v_cndmask_b32_e64 v11, v1, 0x78, vcc_lo
	v_or_b32_e32 v1, 0x800000, v17
	s_delay_alu instid0(VALU_DEP_1) | instskip(SKIP_1) | instid1(VALU_DEP_2)
	v_dual_cndmask_b32 v17, v1, v17 :: v_dual_add_nc_u32 v2, 20, v11
	v_add_nc_u32_e32 v5, 19, v11
	v_lshlrev_b64 v[1:2], v2, -1
	s_delay_alu instid0(VALU_DEP_3) | instskip(NEXT) | instid1(VALU_DEP_2)
	v_lshrrev_b64 v[9:10], v11, v[17:18]
	v_not_b32_e32 v6, v2
	s_delay_alu instid0(VALU_DEP_3) | instskip(SKIP_1) | instid1(VALU_DEP_3)
	v_not_b32_e32 v12, v1
	v_lshlrev_b64 v[1:2], v5, 1
	v_and_b32_e32 v6, 0, v6
	s_delay_alu instid0(VALU_DEP_3) | instskip(SKIP_1) | instid1(VALU_DEP_2)
	v_and_b32_e32 v5, v17, v12
	v_and_b32_e32 v17, 0x100000, v9
	v_cmp_eq_u64_e64 s0, v[5:6], v[1:2]
	s_delay_alu instid0(VALU_DEP_2) | instskip(SKIP_2) | instid1(VALU_DEP_3)
	v_cmp_eq_u64_e64 s1, 0, v[17:18]
	v_cndmask_b32_e64 v1, v7, 0xffffff89, vcc_lo
	v_lshrrev_b32_e32 v2, 23, v9
	s_and_b32 vcc_lo, s1, s0
	s_delay_alu instid0(VALU_DEP_1) | instskip(SKIP_2) | instid1(VALU_DEP_2)
	v_add3_u32 v5, v1, v11, v2
	v_subrev_co_ci_u32_e32 v6, vcc_lo, 0, v9, vcc_lo
	s_mov_b32 s0, exec_lo
	v_add_nc_u32_e32 v7, -1, v5
	s_delay_alu instid0(VALU_DEP_2) | instskip(NEXT) | instid1(VALU_DEP_1)
	v_and_b32_e32 v1, 0xfffff, v6
                                        ; implicit-def: $vgpr6
	v_add_co_u32 v1, vcc_lo, v1, v9
	v_add_co_ci_u32_e32 v2, vcc_lo, 0, v10, vcc_lo
	s_delay_alu instid0(VALU_DEP_4)
	v_cmpx_ne_u32_e32 0, v7
	s_xor_b32 s0, exec_lo, s0
; %bb.241:                              ;   in Loop: Header=BB10_29 Depth=1
	s_delay_alu instid0(VALU_DEP_3) | instskip(SKIP_1) | instid1(VALU_DEP_2)
	v_and_b32_e32 v17, 0x1000000, v1
	v_bfe_u32 v6, v1, 24, 1
	v_cmp_eq_u64_e32 vcc_lo, 0, v[17:18]
	s_delay_alu instid0(VALU_DEP_2)
	v_lshrrev_b64 v[1:2], v6, v[1:2]
	v_cndmask_b32_e32 v6, v5, v7, vcc_lo
; %bb.242:                              ;   in Loop: Header=BB10_29 Depth=1
	s_and_not1_saveexec_b32 s0, s0
; %bb.243:                              ;   in Loop: Header=BB10_29 Depth=1
	s_delay_alu instid0(VALU_DEP_2)
	v_bfe_u32 v6, v1, 23, 1
; %bb.244:                              ;   in Loop: Header=BB10_29 Depth=1
	s_or_b32 exec_lo, exec_lo, s0
	s_delay_alu instid0(VALU_DEP_3) | instskip(NEXT) | instid1(VALU_DEP_2)
	v_lshrrev_b64 v[1:2], 20, v[1:2]
	v_cmp_gt_i32_e32 vcc_lo, 16, v6
	v_cmp_ne_u32_e64 s0, 0, v6
                                        ; implicit-def: $vgpr5
	s_delay_alu instid0(VALU_DEP_3) | instskip(NEXT) | instid1(VALU_DEP_1)
	v_dual_cndmask_b32 v2, 0, v2 :: v_dual_cndmask_b32 v1, 7, v1
	v_cmp_ne_u64_e32 vcc_lo, 0, v[1:2]
	s_delay_alu instid0(VALU_DEP_3) | instskip(NEXT) | instid1(SALU_CYCLE_1)
	s_or_b32 s0, s0, vcc_lo
	s_and_saveexec_b32 s1, s0
	s_delay_alu instid0(SALU_CYCLE_1)
	s_xor_b32 s0, exec_lo, s1
; %bb.245:                              ;   in Loop: Header=BB10_29 Depth=1
	v_min_i32_e32 v2, 15, v6
	s_delay_alu instid0(VALU_DEP_1) | instskip(NEXT) | instid1(VALU_DEP_1)
	v_lshl_or_b32 v2, v2, 3, v3
                                        ; implicit-def: $vgpr3
	v_and_or_b32 v5, v1, 7, v2
; %bb.246:                              ;   in Loop: Header=BB10_29 Depth=1
	s_and_not1_saveexec_b32 s0, s0
; %bb.247:                              ;   in Loop: Header=BB10_29 Depth=1
	v_mov_b32_e32 v5, v3
; %bb.248:                              ;   in Loop: Header=BB10_29 Depth=1
	s_or_b32 exec_lo, exec_lo, s0
.LBB10_249:                             ;   in Loop: Header=BB10_29 Depth=1
	s_delay_alu instid0(SALU_CYCLE_1)
	s_or_b32 exec_lo, exec_lo, s16
.LBB10_250:                             ;   in Loop: Header=BB10_29 Depth=1
	s_and_not1_saveexec_b32 s0, s15
	s_delay_alu instid0(SALU_CYCLE_1)
	s_or_b32 exec_lo, exec_lo, s0
                                        ; implicit-def: $vgpr6
.LBB10_251:                             ;   in Loop: Header=BB10_29 Depth=1
	s_and_not1_saveexec_b32 s0, s14
; %bb.252:                              ;   in Loop: Header=BB10_29 Depth=1
	v_cmp_eq_u64_e32 vcc_lo, 0, v[17:18]
	v_or_b32_e32 v1, 0x7f, v6
	s_delay_alu instid0(VALU_DEP_1)
	v_cndmask_b32_e32 v5, v1, v5, vcc_lo
; %bb.253:                              ;   in Loop: Header=BB10_29 Depth=1
	s_or_b32 exec_lo, exec_lo, s0
	v_fma_mixlo_f16 v1, v21, v4, 0 op_sel_hi:[0,1,0]
	v_add_nc_u32_e32 v7, 13, v22
	s_mov_b32 s0, exec_lo
	v_mov_b32_e32 v10, v18
	s_delay_alu instid0(VALU_DEP_3) | instskip(SKIP_2) | instid1(VALU_DEP_1)
	v_mul_f16_e32 v1, v8, v1
	global_store_b8 v7, v5, s[2:3]
	v_cvt_f32_f16_e32 v1, v1
	v_mul_f32_e32 v1, v23, v1
	s_delay_alu instid0(VALU_DEP_1) | instskip(NEXT) | instid1(VALU_DEP_1)
	v_minmax_f32 v1, v1, s13, 0xc3e00000
	v_lshrrev_b32_e32 v6, 24, v1
	v_and_b32_e32 v9, 0x7f800000, v1
	v_and_b32_e32 v17, 0x7fffff, v1
	s_delay_alu instid0(VALU_DEP_3) | instskip(NEXT) | instid1(VALU_DEP_1)
	v_and_b32_e32 v3, 0x80, v6
	v_or_b32_e32 v2, 0x7e, v3
	s_delay_alu instid0(VALU_DEP_4)
	v_cmpx_ne_u64_e32 0x7f800000, v[9:10]
	s_xor_b32 s14, exec_lo, s0
	s_cbranch_execz .LBB10_267
; %bb.254:                              ;   in Loop: Header=BB10_29 Depth=1
	v_dual_mov_b32 v6, v18 :: v_dual_and_b32 v5, 0x7fffffff, v1
	s_mov_b32 s0, exec_lo
	s_delay_alu instid0(VALU_DEP_1)
	v_cmpx_gt_u64_e32 0x43e00001, v[5:6]
	s_xor_b32 s15, exec_lo, s0
	s_cbranch_execz .LBB10_266
; %bb.255:                              ;   in Loop: Header=BB10_29 Depth=1
	v_mov_b32_e32 v2, 0
	s_mov_b32 s16, exec_lo
	v_cmpx_ne_u32_e32 0, v1
	s_cbranch_execz .LBB10_265
; %bb.256:                              ;   in Loop: Header=BB10_29 Depth=1
	v_bfe_u32 v7, v1, 23, 8
	s_delay_alu instid0(VALU_DEP_1) | instskip(SKIP_2) | instid1(VALU_DEP_3)
	v_sub_nc_u32_e64 v1, 0x79, v7 clamp
	v_cmp_eq_u32_e32 vcc_lo, 0, v7
	v_add_nc_u32_e32 v7, 0xffffff88, v7
	v_cndmask_b32_e64 v11, v1, 0x78, vcc_lo
	v_or_b32_e32 v1, 0x800000, v17
	s_delay_alu instid0(VALU_DEP_1) | instskip(SKIP_1) | instid1(VALU_DEP_2)
	v_dual_cndmask_b32 v17, v1, v17 :: v_dual_add_nc_u32 v2, 20, v11
	v_add_nc_u32_e32 v5, 19, v11
	v_lshlrev_b64 v[1:2], v2, -1
	s_delay_alu instid0(VALU_DEP_3) | instskip(NEXT) | instid1(VALU_DEP_2)
	v_lshrrev_b64 v[9:10], v11, v[17:18]
	v_not_b32_e32 v6, v2
	s_delay_alu instid0(VALU_DEP_3) | instskip(SKIP_1) | instid1(VALU_DEP_3)
	v_not_b32_e32 v12, v1
	v_lshlrev_b64 v[1:2], v5, 1
	v_and_b32_e32 v6, 0, v6
	s_delay_alu instid0(VALU_DEP_3) | instskip(SKIP_1) | instid1(VALU_DEP_2)
	v_and_b32_e32 v5, v17, v12
	v_and_b32_e32 v17, 0x100000, v9
	v_cmp_eq_u64_e64 s0, v[5:6], v[1:2]
	s_delay_alu instid0(VALU_DEP_2) | instskip(SKIP_2) | instid1(VALU_DEP_3)
	v_cmp_eq_u64_e64 s1, 0, v[17:18]
	v_cndmask_b32_e64 v1, v7, 0xffffff89, vcc_lo
	v_lshrrev_b32_e32 v2, 23, v9
	s_and_b32 vcc_lo, s1, s0
	s_delay_alu instid0(VALU_DEP_1) | instskip(SKIP_2) | instid1(VALU_DEP_2)
	v_add3_u32 v6, v1, v11, v2
	v_subrev_co_ci_u32_e32 v5, vcc_lo, 0, v9, vcc_lo
	s_mov_b32 s0, exec_lo
	v_add_nc_u32_e32 v7, -1, v6
	s_delay_alu instid0(VALU_DEP_2) | instskip(NEXT) | instid1(VALU_DEP_1)
	v_and_b32_e32 v1, 0xfffff, v5
                                        ; implicit-def: $vgpr5
	v_add_co_u32 v1, vcc_lo, v1, v9
	v_add_co_ci_u32_e32 v2, vcc_lo, 0, v10, vcc_lo
	s_delay_alu instid0(VALU_DEP_4)
	v_cmpx_ne_u32_e32 0, v7
	s_xor_b32 s0, exec_lo, s0
; %bb.257:                              ;   in Loop: Header=BB10_29 Depth=1
	s_delay_alu instid0(VALU_DEP_3) | instskip(SKIP_1) | instid1(VALU_DEP_2)
	v_and_b32_e32 v17, 0x1000000, v1
	v_bfe_u32 v5, v1, 24, 1
	v_cmp_eq_u64_e32 vcc_lo, 0, v[17:18]
	s_delay_alu instid0(VALU_DEP_2)
	v_lshrrev_b64 v[1:2], v5, v[1:2]
	v_cndmask_b32_e32 v5, v6, v7, vcc_lo
; %bb.258:                              ;   in Loop: Header=BB10_29 Depth=1
	s_and_not1_saveexec_b32 s0, s0
; %bb.259:                              ;   in Loop: Header=BB10_29 Depth=1
	s_delay_alu instid0(VALU_DEP_2)
	v_bfe_u32 v5, v1, 23, 1
; %bb.260:                              ;   in Loop: Header=BB10_29 Depth=1
	s_or_b32 exec_lo, exec_lo, s0
	s_delay_alu instid0(VALU_DEP_3) | instskip(NEXT) | instid1(VALU_DEP_2)
	v_lshrrev_b64 v[1:2], 20, v[1:2]
	v_cmp_gt_i32_e32 vcc_lo, 16, v5
	v_cmp_ne_u32_e64 s0, 0, v5
	s_delay_alu instid0(VALU_DEP_3) | instskip(NEXT) | instid1(VALU_DEP_1)
	v_dual_cndmask_b32 v2, 0, v2 :: v_dual_cndmask_b32 v1, 7, v1
	v_cmp_ne_u64_e32 vcc_lo, 0, v[1:2]
                                        ; implicit-def: $vgpr2
	s_delay_alu instid0(VALU_DEP_3) | instskip(NEXT) | instid1(SALU_CYCLE_1)
	s_or_b32 s0, s0, vcc_lo
	s_and_saveexec_b32 s1, s0
	s_delay_alu instid0(SALU_CYCLE_1)
	s_xor_b32 s0, exec_lo, s1
; %bb.261:                              ;   in Loop: Header=BB10_29 Depth=1
	v_min_i32_e32 v2, 15, v5
	s_delay_alu instid0(VALU_DEP_1) | instskip(NEXT) | instid1(VALU_DEP_1)
	v_lshl_or_b32 v2, v2, 3, v3
                                        ; implicit-def: $vgpr3
	v_and_or_b32 v2, v1, 7, v2
; %bb.262:                              ;   in Loop: Header=BB10_29 Depth=1
	s_and_not1_saveexec_b32 s0, s0
; %bb.263:                              ;   in Loop: Header=BB10_29 Depth=1
	v_mov_b32_e32 v2, v3
; %bb.264:                              ;   in Loop: Header=BB10_29 Depth=1
	s_or_b32 exec_lo, exec_lo, s0
.LBB10_265:                             ;   in Loop: Header=BB10_29 Depth=1
	s_delay_alu instid0(SALU_CYCLE_1)
	s_or_b32 exec_lo, exec_lo, s16
.LBB10_266:                             ;   in Loop: Header=BB10_29 Depth=1
	s_and_not1_saveexec_b32 s0, s15
	s_delay_alu instid0(SALU_CYCLE_1)
	s_or_b32 exec_lo, exec_lo, s0
                                        ; implicit-def: $vgpr6
.LBB10_267:                             ;   in Loop: Header=BB10_29 Depth=1
	s_and_not1_saveexec_b32 s0, s14
; %bb.268:                              ;   in Loop: Header=BB10_29 Depth=1
	v_cmp_eq_u64_e32 vcc_lo, 0, v[17:18]
	v_or_b32_e32 v1, 0x7f, v6
	s_delay_alu instid0(VALU_DEP_1)
	v_cndmask_b32_e32 v2, v1, v2, vcc_lo
; %bb.269:                              ;   in Loop: Header=BB10_29 Depth=1
	s_or_b32 exec_lo, exec_lo, s0
	v_lshrrev_b32_e32 v1, 16, v8
	v_fma_mixlo_f16 v3, v21, v4, 0 op_sel:[0,1,0] op_sel_hi:[0,1,0]
	s_mov_b32 s0, exec_lo
	v_dual_mov_b32 v7, v18 :: v_dual_add_nc_u32 v8, 14, v22
	s_delay_alu instid0(VALU_DEP_2) | instskip(SKIP_2) | instid1(VALU_DEP_1)
	v_mul_f16_e32 v1, v1, v3
	global_store_b8 v8, v2, s[2:3]
	v_cvt_f32_f16_e32 v1, v1
	v_mul_f32_e32 v1, v23, v1
	s_delay_alu instid0(VALU_DEP_1) | instskip(NEXT) | instid1(VALU_DEP_1)
	v_minmax_f32 v1, v1, s13, 0xc3e00000
	v_lshrrev_b32_e32 v5, 24, v1
	v_and_b32_e32 v6, 0x7f800000, v1
	v_and_b32_e32 v17, 0x7fffff, v1
	s_delay_alu instid0(VALU_DEP_3) | instskip(NEXT) | instid1(VALU_DEP_1)
	v_and_b32_e32 v3, 0x80, v5
	v_or_b32_e32 v4, 0x7e, v3
	s_delay_alu instid0(VALU_DEP_4)
	v_cmpx_ne_u64_e32 0x7f800000, v[6:7]
	s_xor_b32 s14, exec_lo, s0
	s_cbranch_execz .LBB10_283
; %bb.270:                              ;   in Loop: Header=BB10_29 Depth=1
	v_dual_mov_b32 v6, v18 :: v_dual_and_b32 v5, 0x7fffffff, v1
	s_mov_b32 s0, exec_lo
	s_delay_alu instid0(VALU_DEP_1)
	v_cmpx_gt_u64_e32 0x43e00001, v[5:6]
	s_xor_b32 s15, exec_lo, s0
	s_cbranch_execz .LBB10_282
; %bb.271:                              ;   in Loop: Header=BB10_29 Depth=1
	v_mov_b32_e32 v4, 0
	s_mov_b32 s16, exec_lo
	v_cmpx_ne_u32_e32 0, v1
	s_cbranch_execz .LBB10_281
; %bb.272:                              ;   in Loop: Header=BB10_29 Depth=1
	v_bfe_u32 v6, v1, 23, 8
	s_delay_alu instid0(VALU_DEP_1) | instskip(SKIP_2) | instid1(VALU_DEP_3)
	v_sub_nc_u32_e64 v1, 0x79, v6 clamp
	v_cmp_eq_u32_e32 vcc_lo, 0, v6
	v_add_nc_u32_e32 v6, 0xffffff88, v6
	v_cndmask_b32_e64 v9, v1, 0x78, vcc_lo
	v_or_b32_e32 v1, 0x800000, v17
	s_delay_alu instid0(VALU_DEP_2) | instskip(NEXT) | instid1(VALU_DEP_2)
	v_add_nc_u32_e32 v2, 20, v9
	v_cndmask_b32_e32 v17, v1, v17, vcc_lo
	v_add_nc_u32_e32 v4, 19, v9
	s_delay_alu instid0(VALU_DEP_3) | instskip(NEXT) | instid1(VALU_DEP_3)
	v_lshlrev_b64 v[1:2], v2, -1
	v_lshrrev_b64 v[7:8], v9, v[17:18]
	s_delay_alu instid0(VALU_DEP_2) | instskip(NEXT) | instid1(VALU_DEP_3)
	v_not_b32_e32 v5, v2
	v_not_b32_e32 v10, v1
	v_lshlrev_b64 v[1:2], v4, 1
	s_delay_alu instid0(VALU_DEP_3) | instskip(NEXT) | instid1(VALU_DEP_3)
	v_and_b32_e32 v5, 0, v5
	v_and_b32_e32 v4, v17, v10
	;; [unrolled: 1-line block ×3, first 2 shown]
	s_delay_alu instid0(VALU_DEP_2) | instskip(NEXT) | instid1(VALU_DEP_2)
	v_cmp_eq_u64_e64 s0, v[4:5], v[1:2]
	v_cmp_eq_u64_e64 s1, 0, v[17:18]
	v_cndmask_b32_e64 v1, v6, 0xffffff89, vcc_lo
	v_lshrrev_b32_e32 v2, 23, v7
	s_delay_alu instid0(VALU_DEP_3) | instskip(NEXT) | instid1(VALU_DEP_1)
	s_and_b32 vcc_lo, s1, s0
	v_add3_u32 v4, v1, v9, v2
	v_subrev_co_ci_u32_e32 v5, vcc_lo, 0, v7, vcc_lo
	s_mov_b32 s0, exec_lo
	s_delay_alu instid0(VALU_DEP_2) | instskip(NEXT) | instid1(VALU_DEP_2)
	v_add_nc_u32_e32 v6, -1, v4
	v_and_b32_e32 v1, 0xfffff, v5
                                        ; implicit-def: $vgpr5
	s_delay_alu instid0(VALU_DEP_1) | instskip(SKIP_1) | instid1(VALU_DEP_4)
	v_add_co_u32 v1, vcc_lo, v1, v7
	v_add_co_ci_u32_e32 v2, vcc_lo, 0, v8, vcc_lo
	v_cmpx_ne_u32_e32 0, v6
	s_xor_b32 s0, exec_lo, s0
; %bb.273:                              ;   in Loop: Header=BB10_29 Depth=1
	s_delay_alu instid0(VALU_DEP_3) | instskip(SKIP_1) | instid1(VALU_DEP_2)
	v_and_b32_e32 v17, 0x1000000, v1
	v_bfe_u32 v5, v1, 24, 1
	v_cmp_eq_u64_e32 vcc_lo, 0, v[17:18]
	s_delay_alu instid0(VALU_DEP_2)
	v_lshrrev_b64 v[1:2], v5, v[1:2]
	v_cndmask_b32_e32 v5, v4, v6, vcc_lo
; %bb.274:                              ;   in Loop: Header=BB10_29 Depth=1
	s_and_not1_saveexec_b32 s0, s0
; %bb.275:                              ;   in Loop: Header=BB10_29 Depth=1
	s_delay_alu instid0(VALU_DEP_2)
	v_bfe_u32 v5, v1, 23, 1
; %bb.276:                              ;   in Loop: Header=BB10_29 Depth=1
	s_or_b32 exec_lo, exec_lo, s0
	s_delay_alu instid0(VALU_DEP_3) | instskip(NEXT) | instid1(VALU_DEP_2)
	v_lshrrev_b64 v[1:2], 20, v[1:2]
	v_cmp_gt_i32_e32 vcc_lo, 16, v5
	v_cmp_ne_u32_e64 s0, 0, v5
                                        ; implicit-def: $vgpr4
	s_delay_alu instid0(VALU_DEP_3) | instskip(NEXT) | instid1(VALU_DEP_1)
	v_dual_cndmask_b32 v2, 0, v2 :: v_dual_cndmask_b32 v1, 7, v1
	v_cmp_ne_u64_e32 vcc_lo, 0, v[1:2]
	s_delay_alu instid0(VALU_DEP_3) | instskip(NEXT) | instid1(SALU_CYCLE_1)
	s_or_b32 s0, s0, vcc_lo
	s_and_saveexec_b32 s1, s0
	s_delay_alu instid0(SALU_CYCLE_1)
	s_xor_b32 s0, exec_lo, s1
; %bb.277:                              ;   in Loop: Header=BB10_29 Depth=1
	v_min_i32_e32 v2, 15, v5
	s_delay_alu instid0(VALU_DEP_1) | instskip(NEXT) | instid1(VALU_DEP_1)
	v_lshl_or_b32 v2, v2, 3, v3
                                        ; implicit-def: $vgpr3
	v_and_or_b32 v4, v1, 7, v2
; %bb.278:                              ;   in Loop: Header=BB10_29 Depth=1
	s_and_not1_saveexec_b32 s0, s0
; %bb.279:                              ;   in Loop: Header=BB10_29 Depth=1
	v_mov_b32_e32 v4, v3
; %bb.280:                              ;   in Loop: Header=BB10_29 Depth=1
	s_or_b32 exec_lo, exec_lo, s0
.LBB10_281:                             ;   in Loop: Header=BB10_29 Depth=1
	s_delay_alu instid0(SALU_CYCLE_1)
	s_or_b32 exec_lo, exec_lo, s16
.LBB10_282:                             ;   in Loop: Header=BB10_29 Depth=1
	s_and_not1_saveexec_b32 s0, s15
	s_delay_alu instid0(SALU_CYCLE_1)
	s_or_b32 exec_lo, exec_lo, s0
                                        ; implicit-def: $vgpr5
.LBB10_283:                             ;   in Loop: Header=BB10_29 Depth=1
	s_and_not1_saveexec_b32 s0, s14
	s_cbranch_execz .LBB10_28
; %bb.284:                              ;   in Loop: Header=BB10_29 Depth=1
	v_cmp_eq_u64_e32 vcc_lo, 0, v[17:18]
	v_or_b32_e32 v1, 0x7f, v5
	s_delay_alu instid0(VALU_DEP_1)
	v_cndmask_b32_e32 v4, v1, v4, vcc_lo
	s_branch .LBB10_28
.LBB10_285:
	s_nop 0
	s_sendmsg sendmsg(MSG_DEALLOC_VGPRS)
	s_endpgm
	.section	.rodata,"a",@progbits
	.p2align	6, 0x0
	.amdhsa_kernel _ZN4vllm32rms_norm_static_fp8_quant_kernelIN3c104HalfENS1_13Float8_e4m3fnELi16EEEvPT0_PKT_iS8_PKffii
		.amdhsa_group_segment_fixed_size 132
		.amdhsa_private_segment_fixed_size 0
		.amdhsa_kernarg_size 312
		.amdhsa_user_sgpr_count 15
		.amdhsa_user_sgpr_dispatch_ptr 0
		.amdhsa_user_sgpr_queue_ptr 0
		.amdhsa_user_sgpr_kernarg_segment_ptr 1
		.amdhsa_user_sgpr_dispatch_id 0
		.amdhsa_user_sgpr_private_segment_size 0
		.amdhsa_wavefront_size32 1
		.amdhsa_uses_dynamic_stack 0
		.amdhsa_enable_private_segment 0
		.amdhsa_system_sgpr_workgroup_id_x 1
		.amdhsa_system_sgpr_workgroup_id_y 0
		.amdhsa_system_sgpr_workgroup_id_z 0
		.amdhsa_system_sgpr_workgroup_info 0
		.amdhsa_system_vgpr_workitem_id 0
		.amdhsa_next_free_vgpr 33
		.amdhsa_next_free_sgpr 20
		.amdhsa_reserve_vcc 1
		.amdhsa_float_round_mode_32 0
		.amdhsa_float_round_mode_16_64 0
		.amdhsa_float_denorm_mode_32 3
		.amdhsa_float_denorm_mode_16_64 3
		.amdhsa_dx10_clamp 1
		.amdhsa_ieee_mode 1
		.amdhsa_fp16_overflow 0
		.amdhsa_workgroup_processor_mode 1
		.amdhsa_memory_ordered 1
		.amdhsa_forward_progress 0
		.amdhsa_shared_vgpr_count 0
		.amdhsa_exception_fp_ieee_invalid_op 0
		.amdhsa_exception_fp_denorm_src 0
		.amdhsa_exception_fp_ieee_div_zero 0
		.amdhsa_exception_fp_ieee_overflow 0
		.amdhsa_exception_fp_ieee_underflow 0
		.amdhsa_exception_fp_ieee_inexact 0
		.amdhsa_exception_int_div_zero 0
	.end_amdhsa_kernel
	.section	.text._ZN4vllm32rms_norm_static_fp8_quant_kernelIN3c104HalfENS1_13Float8_e4m3fnELi16EEEvPT0_PKT_iS8_PKffii,"axG",@progbits,_ZN4vllm32rms_norm_static_fp8_quant_kernelIN3c104HalfENS1_13Float8_e4m3fnELi16EEEvPT0_PKT_iS8_PKffii,comdat
.Lfunc_end10:
	.size	_ZN4vllm32rms_norm_static_fp8_quant_kernelIN3c104HalfENS1_13Float8_e4m3fnELi16EEEvPT0_PKT_iS8_PKffii, .Lfunc_end10-_ZN4vllm32rms_norm_static_fp8_quant_kernelIN3c104HalfENS1_13Float8_e4m3fnELi16EEEvPT0_PKT_iS8_PKffii
                                        ; -- End function
	.section	.AMDGPU.csdata,"",@progbits
; Kernel info:
; codeLenInByte = 11980
; NumSgprs: 22
; NumVgprs: 33
; ScratchSize: 0
; MemoryBound: 0
; FloatMode: 240
; IeeeMode: 1
; LDSByteSize: 132 bytes/workgroup (compile time only)
; SGPRBlocks: 2
; VGPRBlocks: 4
; NumSGPRsForWavesPerEU: 22
; NumVGPRsForWavesPerEU: 33
; Occupancy: 16
; WaveLimiterHint : 0
; COMPUTE_PGM_RSRC2:SCRATCH_EN: 0
; COMPUTE_PGM_RSRC2:USER_SGPR: 15
; COMPUTE_PGM_RSRC2:TRAP_HANDLER: 0
; COMPUTE_PGM_RSRC2:TGID_X_EN: 1
; COMPUTE_PGM_RSRC2:TGID_Y_EN: 0
; COMPUTE_PGM_RSRC2:TGID_Z_EN: 0
; COMPUTE_PGM_RSRC2:TIDIG_COMP_CNT: 0
	.section	.text._ZN4vllm32rms_norm_static_fp8_quant_kernelIN3c104HalfENS1_13Float8_e4m3fnELi8EEEvPT0_PKT_iS8_PKffii,"axG",@progbits,_ZN4vllm32rms_norm_static_fp8_quant_kernelIN3c104HalfENS1_13Float8_e4m3fnELi8EEEvPT0_PKT_iS8_PKffii,comdat
	.protected	_ZN4vllm32rms_norm_static_fp8_quant_kernelIN3c104HalfENS1_13Float8_e4m3fnELi8EEEvPT0_PKT_iS8_PKffii ; -- Begin function _ZN4vllm32rms_norm_static_fp8_quant_kernelIN3c104HalfENS1_13Float8_e4m3fnELi8EEEvPT0_PKT_iS8_PKffii
	.globl	_ZN4vllm32rms_norm_static_fp8_quant_kernelIN3c104HalfENS1_13Float8_e4m3fnELi8EEEvPT0_PKT_iS8_PKffii
	.p2align	8
	.type	_ZN4vllm32rms_norm_static_fp8_quant_kernelIN3c104HalfENS1_13Float8_e4m3fnELi8EEEvPT0_PKT_iS8_PKffii,@function
_ZN4vllm32rms_norm_static_fp8_quant_kernelIN3c104HalfENS1_13Float8_e4m3fnELi8EEEvPT0_PKT_iS8_PKffii: ; @_ZN4vllm32rms_norm_static_fp8_quant_kernelIN3c104HalfENS1_13Float8_e4m3fnELi8EEEvPT0_PKT_iS8_PKffii
; %bb.0:
	s_clause 0x3
	s_load_b32 s2, s[0:1], 0x10
	s_load_b64 s[4:5], s[0:1], 0x8
	s_load_b32 s8, s[0:1], 0x44
	s_load_b32 s13, s[0:1], 0x30
	s_mov_b32 s3, 0
	s_waitcnt lgkmcnt(0)
	s_mul_i32 s2, s15, s2
	s_delay_alu instid0(SALU_CYCLE_1) | instskip(NEXT) | instid1(SALU_CYCLE_1)
	s_lshl_b64 s[6:7], s[2:3], 1
	s_add_u32 s10, s4, s6
	s_addc_u32 s11, s5, s7
	s_and_b32 s2, s10, 15
	s_and_b32 s12, s8, 0xffff
	s_cmp_lg_u64 s[2:3], 0
	s_cselect_b32 s2, -1, 0
	s_and_b32 s3, s13, 7
	s_delay_alu instid0(SALU_CYCLE_1) | instskip(SKIP_1) | instid1(SALU_CYCLE_1)
	s_cmp_lg_u32 s3, 0
	s_cselect_b32 s3, -1, 0
	s_or_b32 s2, s2, s3
	s_delay_alu instid0(SALU_CYCLE_1)
	s_and_b32 vcc_lo, exec_lo, s2
	s_cbranch_vccz .LBB11_14
; %bb.1:
	s_sub_i32 s2, 0, s10
	v_mov_b32_e32 v4, 0
	s_bfe_u32 s2, s2, 0x30001
	s_mov_b32 s3, exec_lo
	s_min_i32 s8, s2, s13
	s_delay_alu instid0(SALU_CYCLE_1)
	v_cmpx_gt_i32_e64 s8, v0
	s_cbranch_execz .LBB11_5
; %bb.2:
	v_dual_mov_b32 v4, 0 :: v_dual_lshlrev_b32 v1, 1, v0
	s_add_u32 s2, s4, s6
	s_addc_u32 s9, s5, s7
	v_mov_b32_e32 v3, v0
	s_delay_alu instid0(VALU_DEP_2) | instskip(NEXT) | instid1(VALU_DEP_1)
	v_add_co_u32 v1, s2, s2, v1
	v_add_co_ci_u32_e64 v2, null, s9, 0, s2
	s_mov_b32 s9, 0
	s_lshl_b32 s14, s12, 1
.LBB11_3:                               ; =>This Inner Loop Header: Depth=1
	global_load_u16 v5, v[1:2], off
	v_add_nc_u32_e32 v3, s12, v3
	v_add_co_u32 v1, vcc_lo, v1, s14
	v_add_co_ci_u32_e32 v2, vcc_lo, 0, v2, vcc_lo
	s_delay_alu instid0(VALU_DEP_3) | instskip(NEXT) | instid1(VALU_DEP_1)
	v_cmp_le_i32_e64 s2, s8, v3
	s_or_b32 s9, s2, s9
	s_waitcnt vmcnt(0)
	v_fma_mix_f32 v4, v5, v5, v4 op_sel_hi:[1,1,0]
	s_and_not1_b32 exec_lo, exec_lo, s9
	s_cbranch_execnz .LBB11_3
; %bb.4:
	s_or_b32 exec_lo, exec_lo, s9
.LBB11_5:
	s_delay_alu instid0(SALU_CYCLE_1)
	s_or_b32 exec_lo, exec_lo, s3
	s_sub_i32 s3, s13, s8
	s_ashr_i32 s9, s8, 31
	s_ashr_i32 s2, s3, 31
	s_mov_b32 s16, exec_lo
	s_lshr_b32 s2, s2, 29
	s_delay_alu instid0(SALU_CYCLE_1) | instskip(NEXT) | instid1(SALU_CYCLE_1)
	s_add_i32 s2, s3, s2
	s_ashr_i32 s14, s2, 3
	s_delay_alu instid0(SALU_CYCLE_1)
	v_cmpx_gt_i32_e64 s14, v0
	s_cbranch_execz .LBB11_9
; %bb.6:
	v_lshlrev_b32_e32 v1, 4, v0
	s_lshl_b64 s[18:19], s[8:9], 1
	s_add_u32 s2, s4, s6
	s_addc_u32 s17, s5, s7
	s_add_u32 s2, s2, s18
	s_addc_u32 s17, s17, s19
	v_add_co_u32 v1, s2, s2, v1
	s_delay_alu instid0(VALU_DEP_1)
	v_add_co_ci_u32_e64 v2, null, s17, 0, s2
	v_mov_b32_e32 v3, v0
	s_mov_b32 s17, 0
	s_lshl_b32 s18, s12, 4
	.p2align	6
.LBB11_7:                               ; =>This Inner Loop Header: Depth=1
	global_load_b128 v[5:8], v[1:2], off
	v_add_nc_u32_e32 v3, s12, v3
	v_add_co_u32 v1, vcc_lo, v1, s18
	v_add_co_ci_u32_e32 v2, vcc_lo, 0, v2, vcc_lo
	s_delay_alu instid0(VALU_DEP_3) | instskip(NEXT) | instid1(VALU_DEP_1)
	v_cmp_le_i32_e64 s2, s14, v3
	s_or_b32 s17, s2, s17
	s_waitcnt vmcnt(0)
	v_fma_mix_f32 v4, v5, v5, v4 op_sel_hi:[1,1,0]
	s_delay_alu instid0(VALU_DEP_1) | instskip(NEXT) | instid1(VALU_DEP_1)
	v_fma_mix_f32 v4, v5, v5, v4 op_sel:[1,1,0] op_sel_hi:[1,1,0]
	v_fma_mix_f32 v4, v6, v6, v4 op_sel_hi:[1,1,0]
	s_delay_alu instid0(VALU_DEP_1) | instskip(NEXT) | instid1(VALU_DEP_1)
	v_fma_mix_f32 v4, v6, v6, v4 op_sel:[1,1,0] op_sel_hi:[1,1,0]
	;; [unrolled: 3-line block ×3, first 2 shown]
	v_fma_mix_f32 v4, v8, v8, v4 op_sel_hi:[1,1,0]
	s_delay_alu instid0(VALU_DEP_1)
	v_fma_mix_f32 v4, v8, v8, v4 op_sel:[1,1,0] op_sel_hi:[1,1,0]
	s_and_not1_b32 exec_lo, exec_lo, s17
	s_cbranch_execnz .LBB11_7
; %bb.8:
	s_or_b32 exec_lo, exec_lo, s17
.LBB11_9:
	s_delay_alu instid0(SALU_CYCLE_1) | instskip(SKIP_2) | instid1(VALU_DEP_1)
	s_or_b32 exec_lo, exec_lo, s16
	v_lshl_add_u32 v1, s14, 3, v0
	s_mov_b32 s14, exec_lo
	v_cmpx_gt_i32_e64 s3, v1
	s_cbranch_execz .LBB11_13
; %bb.10:
	v_ashrrev_i32_e32 v2, 31, v1
	s_lshl_b64 s[8:9], s[8:9], 1
	s_add_u32 s2, s4, s6
	s_addc_u32 s16, s5, s7
	s_add_u32 s2, s2, s8
	v_lshlrev_b64 v[2:3], 1, v[1:2]
	s_addc_u32 s8, s16, s9
	s_lshl_b32 s9, s12, 1
	s_delay_alu instid0(VALU_DEP_1) | instskip(NEXT) | instid1(VALU_DEP_2)
	v_add_co_u32 v2, vcc_lo, s2, v2
	v_add_co_ci_u32_e32 v3, vcc_lo, s8, v3, vcc_lo
	s_mov_b32 s8, 0
.LBB11_11:                              ; =>This Inner Loop Header: Depth=1
	global_load_u16 v5, v[2:3], off
	v_add_nc_u32_e32 v1, s12, v1
	v_add_co_u32 v2, vcc_lo, v2, s9
	v_add_co_ci_u32_e32 v3, vcc_lo, 0, v3, vcc_lo
	s_delay_alu instid0(VALU_DEP_3) | instskip(NEXT) | instid1(VALU_DEP_1)
	v_cmp_le_i32_e64 s2, s3, v1
	s_or_b32 s8, s2, s8
	s_waitcnt vmcnt(0)
	v_fma_mix_f32 v4, v5, v5, v4 op_sel_hi:[1,1,0]
	s_and_not1_b32 exec_lo, exec_lo, s8
	s_cbranch_execnz .LBB11_11
; %bb.12:
	s_or_b32 exec_lo, exec_lo, s8
.LBB11_13:
	s_delay_alu instid0(SALU_CYCLE_1)
	s_or_b32 exec_lo, exec_lo, s14
	s_branch .LBB11_20
.LBB11_14:
                                        ; implicit-def: $vgpr4
	s_cbranch_execz .LBB11_20
; %bb.15:
	v_mov_b32_e32 v4, 0
	s_ashr_i32 s8, s13, 3
	s_mov_b32 s3, exec_lo
	v_cmpx_gt_i32_e64 s8, v0
	s_cbranch_execz .LBB11_19
; %bb.16:
	v_dual_mov_b32 v4, 0 :: v_dual_lshlrev_b32 v1, 4, v0
	s_add_u32 s2, s4, s6
	s_addc_u32 s4, s5, s7
	v_mov_b32_e32 v3, v0
	s_delay_alu instid0(VALU_DEP_2) | instskip(NEXT) | instid1(VALU_DEP_1)
	v_add_co_u32 v1, s2, s2, v1
	v_add_co_ci_u32_e64 v2, null, s4, 0, s2
	s_mov_b32 s4, 0
	s_lshl_b32 s5, s12, 4
	.p2align	6
.LBB11_17:                              ; =>This Inner Loop Header: Depth=1
	global_load_b128 v[5:8], v[1:2], off
	v_add_nc_u32_e32 v3, s12, v3
	v_add_co_u32 v1, vcc_lo, v1, s5
	v_add_co_ci_u32_e32 v2, vcc_lo, 0, v2, vcc_lo
	s_delay_alu instid0(VALU_DEP_3) | instskip(NEXT) | instid1(VALU_DEP_1)
	v_cmp_le_i32_e64 s2, s8, v3
	s_or_b32 s4, s2, s4
	s_waitcnt vmcnt(0)
	v_fma_mix_f32 v4, v5, v5, v4 op_sel_hi:[1,1,0]
	s_delay_alu instid0(VALU_DEP_1) | instskip(NEXT) | instid1(VALU_DEP_1)
	v_fma_mix_f32 v4, v5, v5, v4 op_sel:[1,1,0] op_sel_hi:[1,1,0]
	v_fma_mix_f32 v4, v6, v6, v4 op_sel_hi:[1,1,0]
	s_delay_alu instid0(VALU_DEP_1) | instskip(NEXT) | instid1(VALU_DEP_1)
	v_fma_mix_f32 v4, v6, v6, v4 op_sel:[1,1,0] op_sel_hi:[1,1,0]
	;; [unrolled: 3-line block ×3, first 2 shown]
	v_fma_mix_f32 v4, v8, v8, v4 op_sel_hi:[1,1,0]
	s_delay_alu instid0(VALU_DEP_1)
	v_fma_mix_f32 v4, v8, v8, v4 op_sel:[1,1,0] op_sel_hi:[1,1,0]
	s_and_not1_b32 exec_lo, exec_lo, s4
	s_cbranch_execnz .LBB11_17
; %bb.18:
	s_or_b32 exec_lo, exec_lo, s4
.LBB11_19:
	s_delay_alu instid0(SALU_CYCLE_1)
	s_or_b32 exec_lo, exec_lo, s3
.LBB11_20:
	v_mbcnt_lo_u32_b32 v1, -1, 0
	v_and_b32_e32 v3, 0x3e0, v0
	s_mov_b32 s2, exec_lo
	s_delay_alu instid0(VALU_DEP_2) | instskip(NEXT) | instid1(VALU_DEP_2)
	v_cmp_ne_u32_e32 vcc_lo, 31, v1
	v_sub_nc_u32_e64 v12, s12, v3 clamp
	v_add_nc_u32_e32 v3, 1, v1
	v_add_co_ci_u32_e32 v2, vcc_lo, 0, v1, vcc_lo
	v_cmp_gt_u32_e32 vcc_lo, 30, v1
	s_delay_alu instid0(VALU_DEP_2)
	v_lshlrev_b32_e32 v2, 2, v2
	v_cndmask_b32_e64 v6, 0, 1, vcc_lo
	v_cmp_lt_u32_e32 vcc_lo, v3, v12
	ds_bpermute_b32 v5, v2, v4
	s_waitcnt lgkmcnt(0)
	v_dual_add_f32 v7, v4, v5 :: v_dual_lshlrev_b32 v6, 1, v6
	s_delay_alu instid0(VALU_DEP_1) | instskip(NEXT) | instid1(VALU_DEP_2)
	v_cndmask_b32_e32 v7, v4, v7, vcc_lo
	v_add_lshl_u32 v5, v6, v1, 2
	v_cmp_gt_u32_e32 vcc_lo, 28, v1
	ds_bpermute_b32 v6, v5, v7
	v_cndmask_b32_e64 v4, 0, 1, vcc_lo
	s_delay_alu instid0(VALU_DEP_1) | instskip(SKIP_1) | instid1(VALU_DEP_1)
	v_lshlrev_b32_e32 v8, 2, v4
	v_add_nc_u32_e32 v4, 2, v1
	v_cmp_lt_u32_e32 vcc_lo, v4, v12
	s_waitcnt lgkmcnt(0)
	v_add_f32_e32 v9, v7, v6
	v_add_lshl_u32 v6, v8, v1, 2
	s_delay_alu instid0(VALU_DEP_2) | instskip(SKIP_2) | instid1(VALU_DEP_1)
	v_cndmask_b32_e32 v9, v7, v9, vcc_lo
	v_cmp_gt_u32_e32 vcc_lo, 24, v1
	v_cndmask_b32_e64 v7, 0, 1, vcc_lo
	v_lshlrev_b32_e32 v10, 3, v7
	ds_bpermute_b32 v8, v6, v9
	v_add_nc_u32_e32 v7, 4, v1
	s_delay_alu instid0(VALU_DEP_1) | instskip(SKIP_3) | instid1(VALU_DEP_2)
	v_cmp_lt_u32_e32 vcc_lo, v7, v12
	s_waitcnt lgkmcnt(0)
	v_add_f32_e32 v11, v9, v8
	v_add_lshl_u32 v8, v10, v1, 2
	v_cndmask_b32_e32 v11, v9, v11, vcc_lo
	v_cmp_gt_u32_e32 vcc_lo, 16, v1
	ds_bpermute_b32 v10, v8, v11
	v_cndmask_b32_e64 v9, 0, 1, vcc_lo
	s_delay_alu instid0(VALU_DEP_1) | instskip(SKIP_1) | instid1(VALU_DEP_1)
	v_lshlrev_b32_e32 v13, 4, v9
	v_add_nc_u32_e32 v9, 8, v1
	v_cmp_lt_u32_e32 vcc_lo, v9, v12
	s_waitcnt lgkmcnt(0)
	v_add_f32_e32 v14, v11, v10
	v_add_lshl_u32 v10, v13, v1, 2
	s_delay_alu instid0(VALU_DEP_2)
	v_cndmask_b32_e32 v13, v11, v14, vcc_lo
	v_add_nc_u32_e32 v11, 16, v1
	ds_bpermute_b32 v14, v10, v13
	v_cmp_lt_u32_e32 vcc_lo, v11, v12
	s_waitcnt lgkmcnt(0)
	v_add_f32_e32 v14, v13, v14
	s_delay_alu instid0(VALU_DEP_1)
	v_cndmask_b32_e32 v12, v13, v14, vcc_lo
	v_cmpx_eq_u32_e32 0, v1
	s_cbranch_execz .LBB11_22
; %bb.21:
	v_lshrrev_b32_e32 v13, 3, v0
	s_delay_alu instid0(VALU_DEP_1)
	v_and_b32_e32 v13, 0x7c, v13
	ds_store_b32 v13, v12
.LBB11_22:
	s_or_b32 exec_lo, exec_lo, s2
	s_delay_alu instid0(SALU_CYCLE_1)
	s_mov_b32 s2, exec_lo
	s_waitcnt lgkmcnt(0)
	s_barrier
	buffer_gl0_inv
	v_cmpx_gt_u32_e32 32, v0
	s_cbranch_execz .LBB11_24
; %bb.23:
	v_lshlrev_b32_e32 v1, 2, v1
	s_add_i32 s3, s12, 31
	s_delay_alu instid0(SALU_CYCLE_1) | instskip(NEXT) | instid1(SALU_CYCLE_1)
	s_lshr_b32 s3, s3, 5
	v_cmp_gt_u32_e32 vcc_lo, s3, v3
	ds_load_b32 v1, v1
	s_waitcnt lgkmcnt(0)
	ds_bpermute_b32 v2, v2, v1
	s_waitcnt lgkmcnt(0)
	v_add_f32_e32 v2, v1, v2
	s_delay_alu instid0(VALU_DEP_1) | instskip(SKIP_4) | instid1(VALU_DEP_1)
	v_cndmask_b32_e32 v1, v1, v2, vcc_lo
	v_cmp_gt_u32_e32 vcc_lo, s3, v4
	ds_bpermute_b32 v2, v5, v1
	s_waitcnt lgkmcnt(0)
	v_add_f32_e32 v2, v1, v2
	v_cndmask_b32_e32 v1, v1, v2, vcc_lo
	v_cmp_gt_u32_e32 vcc_lo, s3, v7
	ds_bpermute_b32 v2, v6, v1
	s_waitcnt lgkmcnt(0)
	v_add_f32_e32 v2, v1, v2
	s_delay_alu instid0(VALU_DEP_1) | instskip(SKIP_4) | instid1(VALU_DEP_1)
	v_cndmask_b32_e32 v1, v1, v2, vcc_lo
	v_cmp_gt_u32_e32 vcc_lo, s3, v9
	ds_bpermute_b32 v2, v8, v1
	s_waitcnt lgkmcnt(0)
	v_add_f32_e32 v2, v1, v2
	v_cndmask_b32_e32 v1, v1, v2, vcc_lo
	v_cmp_gt_u32_e32 vcc_lo, s3, v11
	ds_bpermute_b32 v2, v10, v1
	s_waitcnt lgkmcnt(0)
	v_add_f32_e32 v2, v1, v2
	s_delay_alu instid0(VALU_DEP_1)
	v_cndmask_b32_e32 v12, v1, v2, vcc_lo
.LBB11_24:
	s_or_b32 exec_lo, exec_lo, s2
	s_delay_alu instid0(SALU_CYCLE_1)
	s_mov_b32 s2, exec_lo
	v_cmpx_eq_u32_e32 0, v0
	s_cbranch_execz .LBB11_26
; %bb.25:
	v_cvt_f32_i32_e32 v1, s13
	s_load_b32 s3, s[0:1], 0x28
	s_delay_alu instid0(VALU_DEP_1) | instskip(SKIP_1) | instid1(VALU_DEP_2)
	v_div_scale_f32 v2, null, v1, v1, v12
	v_div_scale_f32 v5, vcc_lo, v12, v1, v12
	v_rcp_f32_e32 v3, v2
	s_waitcnt_depctr 0xfff
	v_fma_f32 v4, -v2, v3, 1.0
	s_delay_alu instid0(VALU_DEP_1) | instskip(NEXT) | instid1(VALU_DEP_1)
	v_fmac_f32_e32 v3, v4, v3
	v_mul_f32_e32 v4, v5, v3
	s_delay_alu instid0(VALU_DEP_1) | instskip(NEXT) | instid1(VALU_DEP_1)
	v_fma_f32 v6, -v2, v4, v5
	v_fmac_f32_e32 v4, v6, v3
	s_delay_alu instid0(VALU_DEP_1) | instskip(NEXT) | instid1(VALU_DEP_1)
	v_fma_f32 v2, -v2, v4, v5
	v_div_fmas_f32 v2, v2, v3, v4
	s_delay_alu instid0(VALU_DEP_1) | instskip(SKIP_1) | instid1(VALU_DEP_1)
	v_div_fixup_f32 v1, v2, v1, v12
	s_waitcnt lgkmcnt(0)
	v_add_f32_e32 v1, s3, v1
	s_delay_alu instid0(VALU_DEP_1) | instskip(SKIP_1) | instid1(VALU_DEP_2)
	v_mul_f32_e32 v2, 0x4b800000, v1
	v_cmp_gt_f32_e32 vcc_lo, 0x800000, v1
	v_cndmask_b32_e32 v1, v1, v2, vcc_lo
	s_delay_alu instid0(VALU_DEP_1) | instskip(SKIP_2) | instid1(VALU_DEP_1)
	v_rsq_f32_e32 v1, v1
	s_waitcnt_depctr 0xfff
	v_mul_f32_e32 v2, 0x45800000, v1
	v_dual_cndmask_b32 v1, v1, v2 :: v_dual_mov_b32 v2, 0
	ds_store_b32 v2, v1 offset:128
.LBB11_26:
	s_or_b32 exec_lo, exec_lo, s2
	s_ashr_i32 s2, s13, 31
	s_waitcnt lgkmcnt(0)
	s_lshr_b32 s2, s2, 29
	s_barrier
	s_add_i32 s2, s13, s2
	buffer_gl0_inv
	s_ashr_i32 s8, s2, 3
	s_mov_b32 s2, exec_lo
	v_cmpx_gt_i32_e64 s8, v0
	s_cbranch_execz .LBB11_157
; %bb.27:
	s_clause 0x1
	s_load_b128 s[4:7], s[0:1], 0x18
	s_load_b64 s[2:3], s[0:1], 0x0
	s_mul_i32 s15, s15, s13
	s_lshl_b32 s9, s12, 4
	v_lshl_add_u32 v14, v0, 3, s15
	s_mov_b32 s13, 0x43e00000
	v_mov_b32_e32 v10, 0
	v_lshlrev_b32_e32 v16, 4, v0
	ds_load_b32 v13, v10 offset:128
	s_waitcnt lgkmcnt(0)
	s_load_b32 s7, s[6:7], 0x0
	s_lshl_b32 s6, s12, 3
	s_waitcnt lgkmcnt(0)
	v_div_scale_f32 v1, null, s7, s7, 1.0
	v_div_scale_f32 v4, vcc_lo, 1.0, s7, 1.0
	s_delay_alu instid0(VALU_DEP_2) | instskip(SKIP_2) | instid1(VALU_DEP_1)
	v_rcp_f32_e32 v2, v1
	s_waitcnt_depctr 0xfff
	v_fma_f32 v3, -v1, v2, 1.0
	v_fmac_f32_e32 v2, v3, v2
	s_delay_alu instid0(VALU_DEP_1) | instskip(NEXT) | instid1(VALU_DEP_1)
	v_mul_f32_e32 v3, v4, v2
	v_fma_f32 v5, -v1, v3, v4
	s_delay_alu instid0(VALU_DEP_1) | instskip(NEXT) | instid1(VALU_DEP_1)
	v_fmac_f32_e32 v3, v5, v2
	v_fma_f32 v1, -v1, v3, v4
	s_delay_alu instid0(VALU_DEP_1) | instskip(NEXT) | instid1(VALU_DEP_1)
	v_div_fmas_f32 v1, v1, v2, v3
	v_div_fixup_f32 v15, v1, s7, 1.0
	s_mov_b32 s7, 0
	s_branch .LBB11_29
.LBB11_28:                              ;   in Loop: Header=BB11_29 Depth=1
	s_or_b32 exec_lo, exec_lo, s0
	v_add_nc_u32_e32 v0, s12, v0
	s_add_u32 s4, s4, s9
	v_add_nc_u32_e32 v1, 7, v14
	v_add_nc_u32_e32 v14, s6, v14
	s_addc_u32 s5, s5, 0
	v_cmp_le_i32_e32 vcc_lo, s8, v0
	s_add_u32 s10, s10, s9
	s_addc_u32 s11, s11, 0
	global_store_b8 v1, v4, s[2:3]
	s_or_b32 s7, vcc_lo, s7
	s_delay_alu instid0(SALU_CYCLE_1)
	s_and_not1_b32 exec_lo, exec_lo, s7
	s_cbranch_execz .LBB11_157
.LBB11_29:                              ; =>This Inner Loop Header: Depth=1
	v_add_co_u32 v1, s0, s10, v16
	s_delay_alu instid0(VALU_DEP_1) | instskip(SKIP_1) | instid1(VALU_DEP_1)
	v_add_co_ci_u32_e64 v2, null, s11, 0, s0
	v_add_co_u32 v5, s0, s4, v16
	v_add_co_ci_u32_e64 v6, null, s5, 0, s0
	global_load_b128 v[1:4], v[1:2], off
	s_mov_b32 s0, exec_lo
	v_mov_b32_e32 v20, v10
	global_load_b128 v[5:8], v[5:6], off
	s_waitcnt vmcnt(1)
	v_fma_mixlo_f16 v9, v13, v1, 0 op_sel_hi:[0,1,0]
	s_waitcnt vmcnt(0)
	s_delay_alu instid0(VALU_DEP_1) | instskip(NEXT) | instid1(VALU_DEP_1)
	v_mul_f16_e32 v9, v5, v9
	v_cvt_f32_f16_e32 v9, v9
	s_delay_alu instid0(VALU_DEP_1) | instskip(NEXT) | instid1(VALU_DEP_1)
	v_mul_f32_e32 v9, v15, v9
	v_minmax_f32 v11, v9, s13, 0xc3e00000
	s_delay_alu instid0(VALU_DEP_1) | instskip(SKIP_2) | instid1(VALU_DEP_3)
	v_lshrrev_b32_e32 v18, 24, v11
	v_and_b32_e32 v19, 0x7f800000, v11
	v_and_b32_e32 v9, 0x7fffff, v11
	;; [unrolled: 1-line block ×3, first 2 shown]
	s_delay_alu instid0(VALU_DEP_1) | instskip(NEXT) | instid1(VALU_DEP_4)
	v_or_b32_e32 v12, 0x7e, v17
	v_cmpx_ne_u64_e32 0x7f800000, v[19:20]
	s_xor_b32 s14, exec_lo, s0
	s_cbranch_execz .LBB11_43
; %bb.30:                               ;   in Loop: Header=BB11_29 Depth=1
	v_dual_mov_b32 v19, v10 :: v_dual_and_b32 v18, 0x7fffffff, v11
	s_mov_b32 s0, exec_lo
	s_delay_alu instid0(VALU_DEP_1)
	v_cmpx_gt_u64_e32 0x43e00001, v[18:19]
	s_xor_b32 s15, exec_lo, s0
	s_cbranch_execz .LBB11_42
; %bb.31:                               ;   in Loop: Header=BB11_29 Depth=1
	v_mov_b32_e32 v12, 0
	s_mov_b32 s16, exec_lo
	v_cmpx_ne_u32_e32 0, v11
	s_cbranch_execz .LBB11_41
; %bb.32:                               ;   in Loop: Header=BB11_29 Depth=1
	v_bfe_u32 v22, v11, 23, 8
	s_delay_alu instid0(VALU_DEP_1) | instskip(SKIP_2) | instid1(VALU_DEP_3)
	v_sub_nc_u32_e64 v11, 0x79, v22 clamp
	v_cmp_eq_u32_e32 vcc_lo, 0, v22
	v_add_nc_u32_e32 v22, 0xffffff88, v22
	v_cndmask_b32_e64 v23, v11, 0x78, vcc_lo
	v_or_b32_e32 v11, 0x800000, v9
	s_delay_alu instid0(VALU_DEP_1) | instskip(SKIP_1) | instid1(VALU_DEP_2)
	v_dual_cndmask_b32 v9, v11, v9 :: v_dual_add_nc_u32 v12, 20, v23
	v_add_nc_u32_e32 v18, 19, v23
	v_lshlrev_b64 v[11:12], v12, -1
	s_delay_alu instid0(VALU_DEP_3) | instskip(NEXT) | instid1(VALU_DEP_2)
	v_lshrrev_b64 v[20:21], v23, v[9:10]
	v_not_b32_e32 v19, v12
	s_delay_alu instid0(VALU_DEP_3) | instskip(SKIP_1) | instid1(VALU_DEP_3)
	v_not_b32_e32 v24, v11
	v_lshlrev_b64 v[11:12], v18, 1
	v_and_b32_e32 v19, 0, v19
	s_delay_alu instid0(VALU_DEP_3) | instskip(SKIP_1) | instid1(VALU_DEP_2)
	v_and_b32_e32 v18, v9, v24
	v_and_b32_e32 v9, 0x100000, v20
	v_cmp_eq_u64_e64 s0, v[18:19], v[11:12]
	s_delay_alu instid0(VALU_DEP_2) | instskip(SKIP_2) | instid1(VALU_DEP_3)
	v_cmp_eq_u64_e64 s1, 0, v[9:10]
	v_cndmask_b32_e64 v9, v22, 0xffffff89, vcc_lo
	v_lshrrev_b32_e32 v11, 23, v20
	s_and_b32 vcc_lo, s1, s0
	s_delay_alu instid0(VALU_DEP_1) | instskip(SKIP_2) | instid1(VALU_DEP_2)
	v_add3_u32 v18, v9, v23, v11
	v_subrev_co_ci_u32_e32 v12, vcc_lo, 0, v20, vcc_lo
	s_mov_b32 s0, exec_lo
	v_add_nc_u32_e32 v19, -1, v18
	s_delay_alu instid0(VALU_DEP_2) | instskip(NEXT) | instid1(VALU_DEP_1)
	v_and_b32_e32 v9, 0xfffff, v12
	v_add_co_u32 v11, vcc_lo, v9, v20
	v_add_co_ci_u32_e32 v12, vcc_lo, 0, v21, vcc_lo
                                        ; implicit-def: $vgpr9
	s_delay_alu instid0(VALU_DEP_4)
	v_cmpx_ne_u32_e32 0, v19
	s_xor_b32 s0, exec_lo, s0
; %bb.33:                               ;   in Loop: Header=BB11_29 Depth=1
	s_delay_alu instid0(VALU_DEP_3) | instskip(SKIP_1) | instid1(VALU_DEP_2)
	v_and_b32_e32 v9, 0x1000000, v11
	v_bfe_u32 v20, v11, 24, 1
	v_cmp_eq_u64_e32 vcc_lo, 0, v[9:10]
	s_delay_alu instid0(VALU_DEP_2)
	v_lshrrev_b64 v[11:12], v20, v[11:12]
	v_cndmask_b32_e32 v9, v18, v19, vcc_lo
; %bb.34:                               ;   in Loop: Header=BB11_29 Depth=1
	s_and_not1_saveexec_b32 s0, s0
; %bb.35:                               ;   in Loop: Header=BB11_29 Depth=1
	s_delay_alu instid0(VALU_DEP_2)
	v_bfe_u32 v9, v11, 23, 1
; %bb.36:                               ;   in Loop: Header=BB11_29 Depth=1
	s_or_b32 exec_lo, exec_lo, s0
	s_delay_alu instid0(VALU_DEP_3) | instskip(NEXT) | instid1(VALU_DEP_2)
	v_lshrrev_b64 v[11:12], 20, v[11:12]
	v_cmp_gt_i32_e32 vcc_lo, 16, v9
	v_cmp_ne_u32_e64 s0, 0, v9
	s_delay_alu instid0(VALU_DEP_3) | instskip(NEXT) | instid1(VALU_DEP_1)
	v_dual_cndmask_b32 v12, 0, v12 :: v_dual_cndmask_b32 v11, 7, v11
	v_cmp_ne_u64_e32 vcc_lo, 0, v[11:12]
                                        ; implicit-def: $vgpr12
	s_delay_alu instid0(VALU_DEP_3) | instskip(NEXT) | instid1(SALU_CYCLE_1)
	s_or_b32 s0, s0, vcc_lo
	s_and_saveexec_b32 s1, s0
	s_delay_alu instid0(SALU_CYCLE_1)
	s_xor_b32 s0, exec_lo, s1
; %bb.37:                               ;   in Loop: Header=BB11_29 Depth=1
	v_min_i32_e32 v9, 15, v9
	s_delay_alu instid0(VALU_DEP_1) | instskip(NEXT) | instid1(VALU_DEP_1)
	v_lshl_or_b32 v9, v9, 3, v17
                                        ; implicit-def: $vgpr17
	v_and_or_b32 v12, v11, 7, v9
; %bb.38:                               ;   in Loop: Header=BB11_29 Depth=1
	s_and_not1_saveexec_b32 s0, s0
; %bb.39:                               ;   in Loop: Header=BB11_29 Depth=1
	v_mov_b32_e32 v12, v17
; %bb.40:                               ;   in Loop: Header=BB11_29 Depth=1
	s_or_b32 exec_lo, exec_lo, s0
.LBB11_41:                              ;   in Loop: Header=BB11_29 Depth=1
	s_delay_alu instid0(SALU_CYCLE_1)
	s_or_b32 exec_lo, exec_lo, s16
.LBB11_42:                              ;   in Loop: Header=BB11_29 Depth=1
	s_and_not1_saveexec_b32 s0, s15
	s_delay_alu instid0(SALU_CYCLE_1)
	s_or_b32 exec_lo, exec_lo, s0
                                        ; implicit-def: $vgpr18
.LBB11_43:                              ;   in Loop: Header=BB11_29 Depth=1
	s_and_not1_saveexec_b32 s0, s14
; %bb.44:                               ;   in Loop: Header=BB11_29 Depth=1
	v_cmp_eq_u64_e32 vcc_lo, 0, v[9:10]
	v_or_b32_e32 v11, 0x7f, v18
	s_delay_alu instid0(VALU_DEP_1)
	v_cndmask_b32_e32 v12, v11, v12, vcc_lo
; %bb.45:                               ;   in Loop: Header=BB11_29 Depth=1
	s_or_b32 exec_lo, exec_lo, s0
	v_lshrrev_b32_e32 v5, 16, v5
	v_fma_mixlo_f16 v1, v13, v1, 0 op_sel:[0,1,0] op_sel_hi:[0,1,0]
	v_mov_b32_e32 v19, v10
	global_store_b8 v14, v12, s[2:3]
	s_mov_b32 s0, exec_lo
	v_mul_f16_e32 v1, v5, v1
	s_delay_alu instid0(VALU_DEP_1) | instskip(NEXT) | instid1(VALU_DEP_1)
	v_cvt_f32_f16_e32 v1, v1
	v_mul_f32_e32 v1, v15, v1
	s_delay_alu instid0(VALU_DEP_1) | instskip(NEXT) | instid1(VALU_DEP_1)
	v_minmax_f32 v11, v1, s13, 0xc3e00000
	v_and_b32_e32 v18, 0x7f800000, v11
	v_lshrrev_b32_e32 v17, 24, v11
	v_and_b32_e32 v9, 0x7fffff, v11
	s_delay_alu instid0(VALU_DEP_2) | instskip(NEXT) | instid1(VALU_DEP_1)
	v_and_b32_e32 v1, 0x80, v17
	v_or_b32_e32 v5, 0x7e, v1
	v_cmpx_ne_u64_e32 0x7f800000, v[18:19]
	s_xor_b32 s14, exec_lo, s0
	s_cbranch_execz .LBB11_59
; %bb.46:                               ;   in Loop: Header=BB11_29 Depth=1
	v_dual_mov_b32 v18, v10 :: v_dual_and_b32 v17, 0x7fffffff, v11
	s_mov_b32 s0, exec_lo
	s_delay_alu instid0(VALU_DEP_1)
	v_cmpx_gt_u64_e32 0x43e00001, v[17:18]
	s_xor_b32 s15, exec_lo, s0
	s_cbranch_execz .LBB11_58
; %bb.47:                               ;   in Loop: Header=BB11_29 Depth=1
	v_mov_b32_e32 v5, 0
	s_mov_b32 s16, exec_lo
	v_cmpx_ne_u32_e32 0, v11
	s_cbranch_execz .LBB11_57
; %bb.48:                               ;   in Loop: Header=BB11_29 Depth=1
	v_bfe_u32 v5, v11, 23, 8
	s_delay_alu instid0(VALU_DEP_1) | instskip(SKIP_2) | instid1(VALU_DEP_3)
	v_sub_nc_u32_e64 v11, 0x79, v5 clamp
	v_cmp_eq_u32_e32 vcc_lo, 0, v5
	v_add_nc_u32_e32 v5, 0xffffff88, v5
	v_cndmask_b32_e64 v17, v11, 0x78, vcc_lo
	v_or_b32_e32 v11, 0x800000, v9
	s_delay_alu instid0(VALU_DEP_3) | instskip(NEXT) | instid1(VALU_DEP_3)
	v_cndmask_b32_e64 v5, v5, 0xffffff89, vcc_lo
	v_add_nc_u32_e32 v12, 20, v17
	s_delay_alu instid0(VALU_DEP_3) | instskip(SKIP_1) | instid1(VALU_DEP_3)
	v_cndmask_b32_e32 v9, v11, v9, vcc_lo
	v_add_nc_u32_e32 v20, 19, v17
	v_lshlrev_b64 v[11:12], v12, -1
	s_delay_alu instid0(VALU_DEP_3) | instskip(NEXT) | instid1(VALU_DEP_2)
	v_lshrrev_b64 v[18:19], v17, v[9:10]
	v_not_b32_e32 v21, v12
	s_delay_alu instid0(VALU_DEP_3) | instskip(SKIP_1) | instid1(VALU_DEP_3)
	v_not_b32_e32 v22, v11
	v_lshlrev_b64 v[11:12], v20, 1
	v_and_b32_e32 v21, 0, v21
	s_delay_alu instid0(VALU_DEP_3) | instskip(SKIP_1) | instid1(VALU_DEP_2)
	v_and_b32_e32 v20, v9, v22
	v_and_b32_e32 v9, 0x100000, v18
	v_cmp_eq_u64_e64 s0, v[20:21], v[11:12]
	s_delay_alu instid0(VALU_DEP_2) | instskip(SKIP_1) | instid1(VALU_DEP_1)
	v_cmp_eq_u64_e64 s1, 0, v[9:10]
	v_lshrrev_b32_e32 v9, 23, v18
	v_add3_u32 v5, v5, v17, v9
	s_delay_alu instid0(VALU_DEP_3) | instskip(SKIP_2) | instid1(VALU_DEP_2)
	s_and_b32 vcc_lo, s1, s0
	s_mov_b32 s0, exec_lo
	v_subrev_co_ci_u32_e32 v11, vcc_lo, 0, v18, vcc_lo
	v_add_nc_u32_e32 v17, -1, v5
	s_delay_alu instid0(VALU_DEP_2) | instskip(NEXT) | instid1(VALU_DEP_1)
	v_and_b32_e32 v9, 0xfffff, v11
	v_add_co_u32 v11, vcc_lo, v9, v18
	v_add_co_ci_u32_e32 v12, vcc_lo, 0, v19, vcc_lo
                                        ; implicit-def: $vgpr9
	s_delay_alu instid0(VALU_DEP_4)
	v_cmpx_ne_u32_e32 0, v17
	s_xor_b32 s0, exec_lo, s0
; %bb.49:                               ;   in Loop: Header=BB11_29 Depth=1
	s_delay_alu instid0(VALU_DEP_3) | instskip(SKIP_1) | instid1(VALU_DEP_2)
	v_and_b32_e32 v9, 0x1000000, v11
	v_bfe_u32 v18, v11, 24, 1
	v_cmp_eq_u64_e32 vcc_lo, 0, v[9:10]
	s_delay_alu instid0(VALU_DEP_2)
	v_lshrrev_b64 v[11:12], v18, v[11:12]
	v_cndmask_b32_e32 v9, v5, v17, vcc_lo
; %bb.50:                               ;   in Loop: Header=BB11_29 Depth=1
	s_and_not1_saveexec_b32 s0, s0
; %bb.51:                               ;   in Loop: Header=BB11_29 Depth=1
	s_delay_alu instid0(VALU_DEP_2)
	v_bfe_u32 v9, v11, 23, 1
; %bb.52:                               ;   in Loop: Header=BB11_29 Depth=1
	s_or_b32 exec_lo, exec_lo, s0
	s_delay_alu instid0(VALU_DEP_3) | instskip(NEXT) | instid1(VALU_DEP_2)
	v_lshrrev_b64 v[11:12], 20, v[11:12]
	v_cmp_gt_i32_e32 vcc_lo, 16, v9
	v_cmp_ne_u32_e64 s0, 0, v9
                                        ; implicit-def: $vgpr5
	s_delay_alu instid0(VALU_DEP_3) | instskip(NEXT) | instid1(VALU_DEP_1)
	v_dual_cndmask_b32 v12, 0, v12 :: v_dual_cndmask_b32 v11, 7, v11
	v_cmp_ne_u64_e32 vcc_lo, 0, v[11:12]
	s_delay_alu instid0(VALU_DEP_3) | instskip(NEXT) | instid1(SALU_CYCLE_1)
	s_or_b32 s0, s0, vcc_lo
	s_and_saveexec_b32 s1, s0
	s_delay_alu instid0(SALU_CYCLE_1)
	s_xor_b32 s0, exec_lo, s1
; %bb.53:                               ;   in Loop: Header=BB11_29 Depth=1
	v_min_i32_e32 v5, 15, v9
	s_delay_alu instid0(VALU_DEP_1) | instskip(NEXT) | instid1(VALU_DEP_1)
	v_lshl_or_b32 v1, v5, 3, v1
	v_and_or_b32 v5, v11, 7, v1
                                        ; implicit-def: $vgpr1
; %bb.54:                               ;   in Loop: Header=BB11_29 Depth=1
	s_and_not1_saveexec_b32 s0, s0
; %bb.55:                               ;   in Loop: Header=BB11_29 Depth=1
	v_mov_b32_e32 v5, v1
; %bb.56:                               ;   in Loop: Header=BB11_29 Depth=1
	s_or_b32 exec_lo, exec_lo, s0
.LBB11_57:                              ;   in Loop: Header=BB11_29 Depth=1
	s_delay_alu instid0(SALU_CYCLE_1)
	s_or_b32 exec_lo, exec_lo, s16
.LBB11_58:                              ;   in Loop: Header=BB11_29 Depth=1
	s_and_not1_saveexec_b32 s0, s15
	s_delay_alu instid0(SALU_CYCLE_1)
	s_or_b32 exec_lo, exec_lo, s0
                                        ; implicit-def: $vgpr17
.LBB11_59:                              ;   in Loop: Header=BB11_29 Depth=1
	s_and_not1_saveexec_b32 s0, s14
; %bb.60:                               ;   in Loop: Header=BB11_29 Depth=1
	v_cmp_eq_u64_e32 vcc_lo, 0, v[9:10]
	v_or_b32_e32 v1, 0x7f, v17
	s_delay_alu instid0(VALU_DEP_1)
	v_cndmask_b32_e32 v5, v1, v5, vcc_lo
; %bb.61:                               ;   in Loop: Header=BB11_29 Depth=1
	s_or_b32 exec_lo, exec_lo, s0
	v_fma_mixlo_f16 v1, v13, v2, 0 op_sel_hi:[0,1,0]
	v_dual_mov_b32 v19, v10 :: v_dual_add_nc_u32 v20, 1, v14
	s_mov_b32 s0, exec_lo
	s_delay_alu instid0(VALU_DEP_2) | instskip(SKIP_2) | instid1(VALU_DEP_1)
	v_mul_f16_e32 v1, v6, v1
	global_store_b8 v20, v5, s[2:3]
	v_cvt_f32_f16_e32 v1, v1
	v_mul_f32_e32 v1, v15, v1
	s_delay_alu instid0(VALU_DEP_1) | instskip(NEXT) | instid1(VALU_DEP_1)
	v_minmax_f32 v11, v1, s13, 0xc3e00000
	v_and_b32_e32 v18, 0x7f800000, v11
	v_lshrrev_b32_e32 v17, 24, v11
	v_and_b32_e32 v9, 0x7fffff, v11
	s_delay_alu instid0(VALU_DEP_2) | instskip(NEXT) | instid1(VALU_DEP_1)
	v_and_b32_e32 v1, 0x80, v17
	v_or_b32_e32 v12, 0x7e, v1
	v_cmpx_ne_u64_e32 0x7f800000, v[18:19]
	s_xor_b32 s14, exec_lo, s0
	s_cbranch_execz .LBB11_75
; %bb.62:                               ;   in Loop: Header=BB11_29 Depth=1
	v_dual_mov_b32 v18, v10 :: v_dual_and_b32 v17, 0x7fffffff, v11
	s_mov_b32 s0, exec_lo
	s_delay_alu instid0(VALU_DEP_1)
	v_cmpx_gt_u64_e32 0x43e00001, v[17:18]
	s_xor_b32 s15, exec_lo, s0
	s_cbranch_execz .LBB11_74
; %bb.63:                               ;   in Loop: Header=BB11_29 Depth=1
	v_mov_b32_e32 v12, 0
	s_mov_b32 s16, exec_lo
	v_cmpx_ne_u32_e32 0, v11
	s_cbranch_execz .LBB11_73
; %bb.64:                               ;   in Loop: Header=BB11_29 Depth=1
	v_bfe_u32 v5, v11, 23, 8
	s_delay_alu instid0(VALU_DEP_1) | instskip(SKIP_2) | instid1(VALU_DEP_3)
	v_sub_nc_u32_e64 v11, 0x79, v5 clamp
	v_cmp_eq_u32_e32 vcc_lo, 0, v5
	v_add_nc_u32_e32 v5, 0xffffff88, v5
	v_cndmask_b32_e64 v21, v11, 0x78, vcc_lo
	v_or_b32_e32 v11, 0x800000, v9
	s_delay_alu instid0(VALU_DEP_3) | instskip(NEXT) | instid1(VALU_DEP_3)
	v_cndmask_b32_e64 v5, v5, 0xffffff89, vcc_lo
	v_add_nc_u32_e32 v12, 20, v21
	s_delay_alu instid0(VALU_DEP_3) | instskip(SKIP_1) | instid1(VALU_DEP_3)
	v_cndmask_b32_e32 v9, v11, v9, vcc_lo
	v_add_nc_u32_e32 v17, 19, v21
	v_lshlrev_b64 v[11:12], v12, -1
	s_delay_alu instid0(VALU_DEP_1) | instskip(NEXT) | instid1(VALU_DEP_2)
	v_not_b32_e32 v18, v12
	v_not_b32_e32 v22, v11
	s_delay_alu instid0(VALU_DEP_4) | instskip(NEXT) | instid1(VALU_DEP_3)
	v_lshlrev_b64 v[11:12], v17, 1
	v_and_b32_e32 v18, 0, v18
	v_lshrrev_b64 v[19:20], v21, v[9:10]
	s_delay_alu instid0(VALU_DEP_4) | instskip(NEXT) | instid1(VALU_DEP_1)
	v_and_b32_e32 v17, v9, v22
	v_cmp_eq_u64_e64 s0, v[17:18], v[11:12]
	s_delay_alu instid0(VALU_DEP_3) | instskip(NEXT) | instid1(VALU_DEP_1)
	v_and_b32_e32 v9, 0x100000, v19
	v_cmp_eq_u64_e64 s1, 0, v[9:10]
	v_lshrrev_b32_e32 v9, 23, v19
	s_delay_alu instid0(VALU_DEP_1) | instskip(NEXT) | instid1(VALU_DEP_3)
	v_add3_u32 v17, v5, v21, v9
	s_and_b32 vcc_lo, s1, s0
	s_mov_b32 s0, exec_lo
	v_subrev_co_ci_u32_e32 v11, vcc_lo, 0, v19, vcc_lo
	s_delay_alu instid0(VALU_DEP_2) | instskip(NEXT) | instid1(VALU_DEP_2)
	v_add_nc_u32_e32 v18, -1, v17
	v_and_b32_e32 v5, 0xfffff, v11
	s_delay_alu instid0(VALU_DEP_1) | instskip(SKIP_1) | instid1(VALU_DEP_4)
	v_add_co_u32 v11, vcc_lo, v5, v19
	v_add_co_ci_u32_e32 v12, vcc_lo, 0, v20, vcc_lo
                                        ; implicit-def: $vgpr5
	v_cmpx_ne_u32_e32 0, v18
	s_xor_b32 s0, exec_lo, s0
; %bb.65:                               ;   in Loop: Header=BB11_29 Depth=1
	s_delay_alu instid0(VALU_DEP_3) | instskip(SKIP_1) | instid1(VALU_DEP_2)
	v_and_b32_e32 v9, 0x1000000, v11
	v_bfe_u32 v5, v11, 24, 1
	v_cmp_eq_u64_e32 vcc_lo, 0, v[9:10]
	s_delay_alu instid0(VALU_DEP_2)
	v_lshrrev_b64 v[11:12], v5, v[11:12]
	v_cndmask_b32_e32 v5, v17, v18, vcc_lo
; %bb.66:                               ;   in Loop: Header=BB11_29 Depth=1
	s_and_not1_saveexec_b32 s0, s0
; %bb.67:                               ;   in Loop: Header=BB11_29 Depth=1
	s_delay_alu instid0(VALU_DEP_2)
	v_bfe_u32 v5, v11, 23, 1
; %bb.68:                               ;   in Loop: Header=BB11_29 Depth=1
	s_or_b32 exec_lo, exec_lo, s0
	s_delay_alu instid0(VALU_DEP_3) | instskip(NEXT) | instid1(VALU_DEP_2)
	v_lshrrev_b64 v[11:12], 20, v[11:12]
	v_cmp_gt_i32_e32 vcc_lo, 16, v5
	v_cmp_ne_u32_e64 s0, 0, v5
	s_delay_alu instid0(VALU_DEP_3) | instskip(NEXT) | instid1(VALU_DEP_1)
	v_dual_cndmask_b32 v12, 0, v12 :: v_dual_cndmask_b32 v11, 7, v11
	v_cmp_ne_u64_e32 vcc_lo, 0, v[11:12]
                                        ; implicit-def: $vgpr12
	s_delay_alu instid0(VALU_DEP_3) | instskip(NEXT) | instid1(SALU_CYCLE_1)
	s_or_b32 s0, s0, vcc_lo
	s_and_saveexec_b32 s1, s0
	s_delay_alu instid0(SALU_CYCLE_1)
	s_xor_b32 s0, exec_lo, s1
; %bb.69:                               ;   in Loop: Header=BB11_29 Depth=1
	v_min_i32_e32 v5, 15, v5
	s_delay_alu instid0(VALU_DEP_1) | instskip(NEXT) | instid1(VALU_DEP_1)
	v_lshl_or_b32 v1, v5, 3, v1
	v_and_or_b32 v12, v11, 7, v1
                                        ; implicit-def: $vgpr1
; %bb.70:                               ;   in Loop: Header=BB11_29 Depth=1
	s_and_not1_saveexec_b32 s0, s0
; %bb.71:                               ;   in Loop: Header=BB11_29 Depth=1
	v_mov_b32_e32 v12, v1
; %bb.72:                               ;   in Loop: Header=BB11_29 Depth=1
	s_or_b32 exec_lo, exec_lo, s0
.LBB11_73:                              ;   in Loop: Header=BB11_29 Depth=1
	s_delay_alu instid0(SALU_CYCLE_1)
	s_or_b32 exec_lo, exec_lo, s16
.LBB11_74:                              ;   in Loop: Header=BB11_29 Depth=1
	s_and_not1_saveexec_b32 s0, s15
	s_delay_alu instid0(SALU_CYCLE_1)
	s_or_b32 exec_lo, exec_lo, s0
                                        ; implicit-def: $vgpr17
.LBB11_75:                              ;   in Loop: Header=BB11_29 Depth=1
	s_and_not1_saveexec_b32 s0, s14
; %bb.76:                               ;   in Loop: Header=BB11_29 Depth=1
	v_cmp_eq_u64_e32 vcc_lo, 0, v[9:10]
	v_or_b32_e32 v1, 0x7f, v17
	s_delay_alu instid0(VALU_DEP_1)
	v_cndmask_b32_e32 v12, v1, v12, vcc_lo
; %bb.77:                               ;   in Loop: Header=BB11_29 Depth=1
	s_or_b32 exec_lo, exec_lo, s0
	v_lshrrev_b32_e32 v1, 16, v6
	v_fma_mixlo_f16 v2, v13, v2, 0 op_sel:[0,1,0] op_sel_hi:[0,1,0]
	v_add_nc_u32_e32 v11, 2, v14
	s_mov_b32 s0, exec_lo
	v_mov_b32_e32 v18, v10
	s_delay_alu instid0(VALU_DEP_3) | instskip(SKIP_2) | instid1(VALU_DEP_1)
	v_mul_f16_e32 v1, v1, v2
	global_store_b8 v11, v12, s[2:3]
	v_cvt_f32_f16_e32 v1, v1
	v_mul_f32_e32 v1, v15, v1
	s_delay_alu instid0(VALU_DEP_1) | instskip(NEXT) | instid1(VALU_DEP_1)
	v_minmax_f32 v1, v1, s13, 0xc3e00000
	v_lshrrev_b32_e32 v2, 24, v1
	v_and_b32_e32 v17, 0x7f800000, v1
	v_and_b32_e32 v9, 0x7fffff, v1
	s_delay_alu instid0(VALU_DEP_3) | instskip(NEXT) | instid1(VALU_DEP_1)
	v_and_b32_e32 v5, 0x80, v2
	v_or_b32_e32 v6, 0x7e, v5
	s_delay_alu instid0(VALU_DEP_4)
	v_cmpx_ne_u64_e32 0x7f800000, v[17:18]
	s_xor_b32 s14, exec_lo, s0
	s_cbranch_execz .LBB11_91
; %bb.78:                               ;   in Loop: Header=BB11_29 Depth=1
	v_dual_mov_b32 v12, v10 :: v_dual_and_b32 v11, 0x7fffffff, v1
	s_mov_b32 s0, exec_lo
	s_delay_alu instid0(VALU_DEP_1)
	v_cmpx_gt_u64_e32 0x43e00001, v[11:12]
	s_xor_b32 s15, exec_lo, s0
	s_cbranch_execz .LBB11_90
; %bb.79:                               ;   in Loop: Header=BB11_29 Depth=1
	v_mov_b32_e32 v6, 0
	s_mov_b32 s16, exec_lo
	v_cmpx_ne_u32_e32 0, v1
	s_cbranch_execz .LBB11_89
; %bb.80:                               ;   in Loop: Header=BB11_29 Depth=1
	v_bfe_u32 v6, v1, 23, 8
	s_delay_alu instid0(VALU_DEP_1) | instskip(SKIP_2) | instid1(VALU_DEP_3)
	v_sub_nc_u32_e64 v1, 0x79, v6 clamp
	v_cmp_eq_u32_e32 vcc_lo, 0, v6
	v_add_nc_u32_e32 v6, 0xffffff88, v6
	v_cndmask_b32_e64 v19, v1, 0x78, vcc_lo
	v_or_b32_e32 v1, 0x800000, v9
	s_delay_alu instid0(VALU_DEP_1) | instskip(SKIP_1) | instid1(VALU_DEP_2)
	v_dual_cndmask_b32 v9, v1, v9 :: v_dual_add_nc_u32 v2, 20, v19
	v_add_nc_u32_e32 v11, 19, v19
	v_lshlrev_b64 v[1:2], v2, -1
	s_delay_alu instid0(VALU_DEP_3) | instskip(NEXT) | instid1(VALU_DEP_2)
	v_lshrrev_b64 v[17:18], v19, v[9:10]
	v_not_b32_e32 v12, v2
	s_delay_alu instid0(VALU_DEP_3) | instskip(SKIP_1) | instid1(VALU_DEP_3)
	v_not_b32_e32 v20, v1
	v_lshlrev_b64 v[1:2], v11, 1
	v_and_b32_e32 v12, 0, v12
	s_delay_alu instid0(VALU_DEP_3) | instskip(SKIP_1) | instid1(VALU_DEP_2)
	v_and_b32_e32 v11, v9, v20
	v_and_b32_e32 v9, 0x100000, v17
	v_cmp_eq_u64_e64 s0, v[11:12], v[1:2]
	s_delay_alu instid0(VALU_DEP_2) | instskip(SKIP_2) | instid1(VALU_DEP_3)
	v_cmp_eq_u64_e64 s1, 0, v[9:10]
	v_cndmask_b32_e64 v1, v6, 0xffffff89, vcc_lo
	v_lshrrev_b32_e32 v2, 23, v17
	s_and_b32 vcc_lo, s1, s0
	s_delay_alu instid0(VALU_DEP_1) | instskip(SKIP_2) | instid1(VALU_DEP_2)
	v_add3_u32 v6, v1, v19, v2
	v_subrev_co_ci_u32_e32 v9, vcc_lo, 0, v17, vcc_lo
	s_mov_b32 s0, exec_lo
	v_add_nc_u32_e32 v11, -1, v6
	s_delay_alu instid0(VALU_DEP_2) | instskip(NEXT) | instid1(VALU_DEP_1)
	v_and_b32_e32 v1, 0xfffff, v9
                                        ; implicit-def: $vgpr9
	v_add_co_u32 v1, vcc_lo, v1, v17
	v_add_co_ci_u32_e32 v2, vcc_lo, 0, v18, vcc_lo
	s_delay_alu instid0(VALU_DEP_4)
	v_cmpx_ne_u32_e32 0, v11
	s_xor_b32 s0, exec_lo, s0
; %bb.81:                               ;   in Loop: Header=BB11_29 Depth=1
	s_delay_alu instid0(VALU_DEP_3) | instskip(SKIP_1) | instid1(VALU_DEP_2)
	v_and_b32_e32 v9, 0x1000000, v1
	v_bfe_u32 v12, v1, 24, 1
	v_cmp_eq_u64_e32 vcc_lo, 0, v[9:10]
	s_delay_alu instid0(VALU_DEP_2)
	v_lshrrev_b64 v[1:2], v12, v[1:2]
	v_cndmask_b32_e32 v9, v6, v11, vcc_lo
; %bb.82:                               ;   in Loop: Header=BB11_29 Depth=1
	s_and_not1_saveexec_b32 s0, s0
; %bb.83:                               ;   in Loop: Header=BB11_29 Depth=1
	s_delay_alu instid0(VALU_DEP_2)
	v_bfe_u32 v9, v1, 23, 1
; %bb.84:                               ;   in Loop: Header=BB11_29 Depth=1
	s_or_b32 exec_lo, exec_lo, s0
	s_delay_alu instid0(VALU_DEP_3) | instskip(NEXT) | instid1(VALU_DEP_2)
	v_lshrrev_b64 v[1:2], 20, v[1:2]
	v_cmp_gt_i32_e32 vcc_lo, 16, v9
	v_cmp_ne_u32_e64 s0, 0, v9
                                        ; implicit-def: $vgpr6
	s_delay_alu instid0(VALU_DEP_3) | instskip(NEXT) | instid1(VALU_DEP_1)
	v_dual_cndmask_b32 v2, 0, v2 :: v_dual_cndmask_b32 v1, 7, v1
	v_cmp_ne_u64_e32 vcc_lo, 0, v[1:2]
	s_delay_alu instid0(VALU_DEP_3) | instskip(NEXT) | instid1(SALU_CYCLE_1)
	s_or_b32 s0, s0, vcc_lo
	s_and_saveexec_b32 s1, s0
	s_delay_alu instid0(SALU_CYCLE_1)
	s_xor_b32 s0, exec_lo, s1
; %bb.85:                               ;   in Loop: Header=BB11_29 Depth=1
	v_min_i32_e32 v2, 15, v9
	s_delay_alu instid0(VALU_DEP_1) | instskip(NEXT) | instid1(VALU_DEP_1)
	v_lshl_or_b32 v2, v2, 3, v5
                                        ; implicit-def: $vgpr5
	v_and_or_b32 v6, v1, 7, v2
; %bb.86:                               ;   in Loop: Header=BB11_29 Depth=1
	s_and_not1_saveexec_b32 s0, s0
; %bb.87:                               ;   in Loop: Header=BB11_29 Depth=1
	v_mov_b32_e32 v6, v5
; %bb.88:                               ;   in Loop: Header=BB11_29 Depth=1
	s_or_b32 exec_lo, exec_lo, s0
.LBB11_89:                              ;   in Loop: Header=BB11_29 Depth=1
	s_delay_alu instid0(SALU_CYCLE_1)
	s_or_b32 exec_lo, exec_lo, s16
.LBB11_90:                              ;   in Loop: Header=BB11_29 Depth=1
	s_and_not1_saveexec_b32 s0, s15
	s_delay_alu instid0(SALU_CYCLE_1)
	s_or_b32 exec_lo, exec_lo, s0
                                        ; implicit-def: $vgpr2
.LBB11_91:                              ;   in Loop: Header=BB11_29 Depth=1
	s_and_not1_saveexec_b32 s0, s14
; %bb.92:                               ;   in Loop: Header=BB11_29 Depth=1
	v_cmp_eq_u64_e32 vcc_lo, 0, v[9:10]
	v_or_b32_e32 v1, 0x7f, v2
	s_delay_alu instid0(VALU_DEP_1)
	v_cndmask_b32_e32 v6, v1, v6, vcc_lo
; %bb.93:                               ;   in Loop: Header=BB11_29 Depth=1
	s_or_b32 exec_lo, exec_lo, s0
	v_fma_mixlo_f16 v1, v13, v3, 0 op_sel_hi:[0,1,0]
	v_add_nc_u32_e32 v12, 3, v14
	s_mov_b32 s0, exec_lo
	v_mov_b32_e32 v18, v10
	s_delay_alu instid0(VALU_DEP_3) | instskip(SKIP_2) | instid1(VALU_DEP_1)
	v_mul_f16_e32 v1, v7, v1
	global_store_b8 v12, v6, s[2:3]
	v_cvt_f32_f16_e32 v1, v1
	v_mul_f32_e32 v1, v15, v1
	s_delay_alu instid0(VALU_DEP_1) | instskip(NEXT) | instid1(VALU_DEP_1)
	v_minmax_f32 v1, v1, s13, 0xc3e00000
	v_lshrrev_b32_e32 v11, 24, v1
	v_and_b32_e32 v17, 0x7f800000, v1
	v_and_b32_e32 v9, 0x7fffff, v1
	s_delay_alu instid0(VALU_DEP_3) | instskip(NEXT) | instid1(VALU_DEP_1)
	v_and_b32_e32 v5, 0x80, v11
	v_or_b32_e32 v2, 0x7e, v5
	s_delay_alu instid0(VALU_DEP_4)
	v_cmpx_ne_u64_e32 0x7f800000, v[17:18]
	s_xor_b32 s14, exec_lo, s0
	s_cbranch_execz .LBB11_107
; %bb.94:                               ;   in Loop: Header=BB11_29 Depth=1
	v_dual_mov_b32 v12, v10 :: v_dual_and_b32 v11, 0x7fffffff, v1
	s_mov_b32 s0, exec_lo
	s_delay_alu instid0(VALU_DEP_1)
	v_cmpx_gt_u64_e32 0x43e00001, v[11:12]
	s_xor_b32 s15, exec_lo, s0
	s_cbranch_execz .LBB11_106
; %bb.95:                               ;   in Loop: Header=BB11_29 Depth=1
	v_mov_b32_e32 v2, 0
	s_mov_b32 s16, exec_lo
	v_cmpx_ne_u32_e32 0, v1
	s_cbranch_execz .LBB11_105
; %bb.96:                               ;   in Loop: Header=BB11_29 Depth=1
	v_bfe_u32 v6, v1, 23, 8
	s_delay_alu instid0(VALU_DEP_1) | instskip(SKIP_2) | instid1(VALU_DEP_3)
	v_sub_nc_u32_e64 v1, 0x79, v6 clamp
	v_cmp_eq_u32_e32 vcc_lo, 0, v6
	v_add_nc_u32_e32 v6, 0xffffff88, v6
	v_cndmask_b32_e64 v19, v1, 0x78, vcc_lo
	v_or_b32_e32 v1, 0x800000, v9
	s_delay_alu instid0(VALU_DEP_1) | instskip(SKIP_1) | instid1(VALU_DEP_2)
	v_dual_cndmask_b32 v9, v1, v9 :: v_dual_add_nc_u32 v2, 20, v19
	v_add_nc_u32_e32 v11, 19, v19
	v_lshlrev_b64 v[1:2], v2, -1
	s_delay_alu instid0(VALU_DEP_3) | instskip(NEXT) | instid1(VALU_DEP_2)
	v_lshrrev_b64 v[17:18], v19, v[9:10]
	v_not_b32_e32 v12, v2
	s_delay_alu instid0(VALU_DEP_3) | instskip(SKIP_1) | instid1(VALU_DEP_3)
	v_not_b32_e32 v20, v1
	v_lshlrev_b64 v[1:2], v11, 1
	v_and_b32_e32 v12, 0, v12
	s_delay_alu instid0(VALU_DEP_3) | instskip(SKIP_1) | instid1(VALU_DEP_2)
	v_and_b32_e32 v11, v9, v20
	v_and_b32_e32 v9, 0x100000, v17
	v_cmp_eq_u64_e64 s0, v[11:12], v[1:2]
	s_delay_alu instid0(VALU_DEP_2) | instskip(SKIP_2) | instid1(VALU_DEP_3)
	v_cmp_eq_u64_e64 s1, 0, v[9:10]
	v_cndmask_b32_e64 v1, v6, 0xffffff89, vcc_lo
	v_lshrrev_b32_e32 v2, 23, v17
	s_and_b32 vcc_lo, s1, s0
	s_delay_alu instid0(VALU_DEP_1) | instskip(SKIP_2) | instid1(VALU_DEP_2)
	v_add3_u32 v11, v1, v19, v2
	v_subrev_co_ci_u32_e32 v6, vcc_lo, 0, v17, vcc_lo
	s_mov_b32 s0, exec_lo
	v_add_nc_u32_e32 v12, -1, v11
	s_delay_alu instid0(VALU_DEP_2) | instskip(NEXT) | instid1(VALU_DEP_1)
	v_and_b32_e32 v1, 0xfffff, v6
                                        ; implicit-def: $vgpr6
	v_add_co_u32 v1, vcc_lo, v1, v17
	v_add_co_ci_u32_e32 v2, vcc_lo, 0, v18, vcc_lo
	s_delay_alu instid0(VALU_DEP_4)
	v_cmpx_ne_u32_e32 0, v12
	s_xor_b32 s0, exec_lo, s0
; %bb.97:                               ;   in Loop: Header=BB11_29 Depth=1
	s_delay_alu instid0(VALU_DEP_3) | instskip(SKIP_1) | instid1(VALU_DEP_2)
	v_and_b32_e32 v9, 0x1000000, v1
	v_bfe_u32 v6, v1, 24, 1
	v_cmp_eq_u64_e32 vcc_lo, 0, v[9:10]
	s_delay_alu instid0(VALU_DEP_2)
	v_lshrrev_b64 v[1:2], v6, v[1:2]
	v_cndmask_b32_e32 v6, v11, v12, vcc_lo
; %bb.98:                               ;   in Loop: Header=BB11_29 Depth=1
	s_and_not1_saveexec_b32 s0, s0
; %bb.99:                               ;   in Loop: Header=BB11_29 Depth=1
	s_delay_alu instid0(VALU_DEP_2)
	v_bfe_u32 v6, v1, 23, 1
; %bb.100:                              ;   in Loop: Header=BB11_29 Depth=1
	s_or_b32 exec_lo, exec_lo, s0
	s_delay_alu instid0(VALU_DEP_3) | instskip(NEXT) | instid1(VALU_DEP_2)
	v_lshrrev_b64 v[1:2], 20, v[1:2]
	v_cmp_gt_i32_e32 vcc_lo, 16, v6
	v_cmp_ne_u32_e64 s0, 0, v6
	s_delay_alu instid0(VALU_DEP_3) | instskip(NEXT) | instid1(VALU_DEP_1)
	v_dual_cndmask_b32 v2, 0, v2 :: v_dual_cndmask_b32 v1, 7, v1
	v_cmp_ne_u64_e32 vcc_lo, 0, v[1:2]
                                        ; implicit-def: $vgpr2
	s_delay_alu instid0(VALU_DEP_3) | instskip(NEXT) | instid1(SALU_CYCLE_1)
	s_or_b32 s0, s0, vcc_lo
	s_and_saveexec_b32 s1, s0
	s_delay_alu instid0(SALU_CYCLE_1)
	s_xor_b32 s0, exec_lo, s1
; %bb.101:                              ;   in Loop: Header=BB11_29 Depth=1
	v_min_i32_e32 v2, 15, v6
	s_delay_alu instid0(VALU_DEP_1) | instskip(NEXT) | instid1(VALU_DEP_1)
	v_lshl_or_b32 v2, v2, 3, v5
                                        ; implicit-def: $vgpr5
	v_and_or_b32 v2, v1, 7, v2
; %bb.102:                              ;   in Loop: Header=BB11_29 Depth=1
	s_and_not1_saveexec_b32 s0, s0
; %bb.103:                              ;   in Loop: Header=BB11_29 Depth=1
	v_mov_b32_e32 v2, v5
; %bb.104:                              ;   in Loop: Header=BB11_29 Depth=1
	s_or_b32 exec_lo, exec_lo, s0
.LBB11_105:                             ;   in Loop: Header=BB11_29 Depth=1
	s_delay_alu instid0(SALU_CYCLE_1)
	s_or_b32 exec_lo, exec_lo, s16
.LBB11_106:                             ;   in Loop: Header=BB11_29 Depth=1
	s_and_not1_saveexec_b32 s0, s15
	s_delay_alu instid0(SALU_CYCLE_1)
	s_or_b32 exec_lo, exec_lo, s0
                                        ; implicit-def: $vgpr11
.LBB11_107:                             ;   in Loop: Header=BB11_29 Depth=1
	s_and_not1_saveexec_b32 s0, s14
; %bb.108:                              ;   in Loop: Header=BB11_29 Depth=1
	v_cmp_eq_u64_e32 vcc_lo, 0, v[9:10]
	v_or_b32_e32 v1, 0x7f, v11
	s_delay_alu instid0(VALU_DEP_1)
	v_cndmask_b32_e32 v2, v1, v2, vcc_lo
; %bb.109:                              ;   in Loop: Header=BB11_29 Depth=1
	s_or_b32 exec_lo, exec_lo, s0
	v_lshrrev_b32_e32 v1, 16, v7
	v_fma_mixlo_f16 v3, v13, v3, 0 op_sel:[0,1,0] op_sel_hi:[0,1,0]
	v_add_nc_u32_e32 v7, 4, v14
	s_mov_b32 s0, exec_lo
	v_mov_b32_e32 v12, v10
	s_delay_alu instid0(VALU_DEP_3) | instskip(SKIP_2) | instid1(VALU_DEP_1)
	v_mul_f16_e32 v1, v1, v3
	global_store_b8 v7, v2, s[2:3]
	v_cvt_f32_f16_e32 v1, v1
	v_mul_f32_e32 v1, v15, v1
	s_delay_alu instid0(VALU_DEP_1) | instskip(NEXT) | instid1(VALU_DEP_1)
	v_minmax_f32 v1, v1, s13, 0xc3e00000
	v_lshrrev_b32_e32 v6, 24, v1
	v_and_b32_e32 v11, 0x7f800000, v1
	v_and_b32_e32 v9, 0x7fffff, v1
	s_delay_alu instid0(VALU_DEP_3) | instskip(NEXT) | instid1(VALU_DEP_1)
	v_and_b32_e32 v3, 0x80, v6
	v_or_b32_e32 v5, 0x7e, v3
	s_delay_alu instid0(VALU_DEP_4)
	v_cmpx_ne_u64_e32 0x7f800000, v[11:12]
	s_xor_b32 s14, exec_lo, s0
	s_cbranch_execz .LBB11_123
; %bb.110:                              ;   in Loop: Header=BB11_29 Depth=1
	v_dual_mov_b32 v7, v10 :: v_dual_and_b32 v6, 0x7fffffff, v1
	s_mov_b32 s0, exec_lo
	s_delay_alu instid0(VALU_DEP_1)
	v_cmpx_gt_u64_e32 0x43e00001, v[6:7]
	s_xor_b32 s15, exec_lo, s0
	s_cbranch_execz .LBB11_122
; %bb.111:                              ;   in Loop: Header=BB11_29 Depth=1
	v_mov_b32_e32 v5, 0
	s_mov_b32 s16, exec_lo
	v_cmpx_ne_u32_e32 0, v1
	s_cbranch_execz .LBB11_121
; %bb.112:                              ;   in Loop: Header=BB11_29 Depth=1
	v_bfe_u32 v7, v1, 23, 8
	s_delay_alu instid0(VALU_DEP_1) | instskip(SKIP_2) | instid1(VALU_DEP_3)
	v_sub_nc_u32_e64 v1, 0x79, v7 clamp
	v_cmp_eq_u32_e32 vcc_lo, 0, v7
	v_add_nc_u32_e32 v7, 0xffffff88, v7
	v_cndmask_b32_e64 v17, v1, 0x78, vcc_lo
	v_or_b32_e32 v1, 0x800000, v9
	s_delay_alu instid0(VALU_DEP_2) | instskip(NEXT) | instid1(VALU_DEP_2)
	v_add_nc_u32_e32 v2, 20, v17
	v_cndmask_b32_e32 v9, v1, v9, vcc_lo
	v_add_nc_u32_e32 v5, 19, v17
	s_delay_alu instid0(VALU_DEP_3) | instskip(NEXT) | instid1(VALU_DEP_1)
	v_lshlrev_b64 v[1:2], v2, -1
	v_not_b32_e32 v6, v2
	s_delay_alu instid0(VALU_DEP_2) | instskip(NEXT) | instid1(VALU_DEP_4)
	v_not_b32_e32 v18, v1
	v_lshlrev_b64 v[1:2], v5, 1
	s_delay_alu instid0(VALU_DEP_3) | instskip(SKIP_1) | instid1(VALU_DEP_4)
	v_and_b32_e32 v6, 0, v6
	v_lshrrev_b64 v[11:12], v17, v[9:10]
	v_and_b32_e32 v5, v9, v18
	s_delay_alu instid0(VALU_DEP_1) | instskip(NEXT) | instid1(VALU_DEP_3)
	v_cmp_eq_u64_e64 s0, v[5:6], v[1:2]
	v_and_b32_e32 v9, 0x100000, v11
	v_cndmask_b32_e64 v1, v7, 0xffffff89, vcc_lo
	v_lshrrev_b32_e32 v2, 23, v11
	s_delay_alu instid0(VALU_DEP_3) | instskip(NEXT) | instid1(VALU_DEP_2)
	v_cmp_eq_u64_e64 s1, 0, v[9:10]
	v_add3_u32 v5, v1, v17, v2
	s_delay_alu instid0(VALU_DEP_2) | instskip(NEXT) | instid1(VALU_DEP_1)
	s_and_b32 vcc_lo, s1, s0
	v_add_nc_u32_e32 v7, -1, v5
	v_subrev_co_ci_u32_e32 v6, vcc_lo, 0, v11, vcc_lo
	s_mov_b32 s0, exec_lo
	s_delay_alu instid0(VALU_DEP_1) | instskip(NEXT) | instid1(VALU_DEP_1)
	v_and_b32_e32 v1, 0xfffff, v6
                                        ; implicit-def: $vgpr6
	v_add_co_u32 v1, vcc_lo, v1, v11
	v_add_co_ci_u32_e32 v2, vcc_lo, 0, v12, vcc_lo
	v_cmpx_ne_u32_e32 0, v7
	s_xor_b32 s0, exec_lo, s0
; %bb.113:                              ;   in Loop: Header=BB11_29 Depth=1
	s_delay_alu instid0(VALU_DEP_3) | instskip(SKIP_1) | instid1(VALU_DEP_2)
	v_and_b32_e32 v9, 0x1000000, v1
	v_bfe_u32 v6, v1, 24, 1
	v_cmp_eq_u64_e32 vcc_lo, 0, v[9:10]
	s_delay_alu instid0(VALU_DEP_2)
	v_lshrrev_b64 v[1:2], v6, v[1:2]
	v_cndmask_b32_e32 v6, v5, v7, vcc_lo
; %bb.114:                              ;   in Loop: Header=BB11_29 Depth=1
	s_and_not1_saveexec_b32 s0, s0
; %bb.115:                              ;   in Loop: Header=BB11_29 Depth=1
	s_delay_alu instid0(VALU_DEP_2)
	v_bfe_u32 v6, v1, 23, 1
; %bb.116:                              ;   in Loop: Header=BB11_29 Depth=1
	s_or_b32 exec_lo, exec_lo, s0
	s_delay_alu instid0(VALU_DEP_3) | instskip(NEXT) | instid1(VALU_DEP_2)
	v_lshrrev_b64 v[1:2], 20, v[1:2]
	v_cmp_gt_i32_e32 vcc_lo, 16, v6
	v_cmp_ne_u32_e64 s0, 0, v6
                                        ; implicit-def: $vgpr5
	s_delay_alu instid0(VALU_DEP_3) | instskip(NEXT) | instid1(VALU_DEP_1)
	v_dual_cndmask_b32 v2, 0, v2 :: v_dual_cndmask_b32 v1, 7, v1
	v_cmp_ne_u64_e32 vcc_lo, 0, v[1:2]
	s_delay_alu instid0(VALU_DEP_3) | instskip(NEXT) | instid1(SALU_CYCLE_1)
	s_or_b32 s0, s0, vcc_lo
	s_and_saveexec_b32 s1, s0
	s_delay_alu instid0(SALU_CYCLE_1)
	s_xor_b32 s0, exec_lo, s1
; %bb.117:                              ;   in Loop: Header=BB11_29 Depth=1
	v_min_i32_e32 v2, 15, v6
	s_delay_alu instid0(VALU_DEP_1) | instskip(NEXT) | instid1(VALU_DEP_1)
	v_lshl_or_b32 v2, v2, 3, v3
                                        ; implicit-def: $vgpr3
	v_and_or_b32 v5, v1, 7, v2
; %bb.118:                              ;   in Loop: Header=BB11_29 Depth=1
	s_and_not1_saveexec_b32 s0, s0
; %bb.119:                              ;   in Loop: Header=BB11_29 Depth=1
	v_mov_b32_e32 v5, v3
; %bb.120:                              ;   in Loop: Header=BB11_29 Depth=1
	s_or_b32 exec_lo, exec_lo, s0
.LBB11_121:                             ;   in Loop: Header=BB11_29 Depth=1
	s_delay_alu instid0(SALU_CYCLE_1)
	s_or_b32 exec_lo, exec_lo, s16
.LBB11_122:                             ;   in Loop: Header=BB11_29 Depth=1
	s_and_not1_saveexec_b32 s0, s15
	s_delay_alu instid0(SALU_CYCLE_1)
	s_or_b32 exec_lo, exec_lo, s0
                                        ; implicit-def: $vgpr6
.LBB11_123:                             ;   in Loop: Header=BB11_29 Depth=1
	s_and_not1_saveexec_b32 s0, s14
; %bb.124:                              ;   in Loop: Header=BB11_29 Depth=1
	v_cmp_eq_u64_e32 vcc_lo, 0, v[9:10]
	v_or_b32_e32 v1, 0x7f, v6
	s_delay_alu instid0(VALU_DEP_1)
	v_cndmask_b32_e32 v5, v1, v5, vcc_lo
; %bb.125:                              ;   in Loop: Header=BB11_29 Depth=1
	s_or_b32 exec_lo, exec_lo, s0
	v_fma_mixlo_f16 v1, v13, v4, 0 op_sel_hi:[0,1,0]
	v_add_nc_u32_e32 v7, 5, v14
	s_mov_b32 s0, exec_lo
	v_mov_b32_e32 v12, v10
	s_delay_alu instid0(VALU_DEP_3) | instskip(SKIP_2) | instid1(VALU_DEP_1)
	v_mul_f16_e32 v1, v8, v1
	global_store_b8 v7, v5, s[2:3]
	v_cvt_f32_f16_e32 v1, v1
	v_mul_f32_e32 v1, v15, v1
	s_delay_alu instid0(VALU_DEP_1) | instskip(NEXT) | instid1(VALU_DEP_1)
	v_minmax_f32 v1, v1, s13, 0xc3e00000
	v_lshrrev_b32_e32 v6, 24, v1
	v_and_b32_e32 v11, 0x7f800000, v1
	v_and_b32_e32 v9, 0x7fffff, v1
	s_delay_alu instid0(VALU_DEP_3) | instskip(NEXT) | instid1(VALU_DEP_1)
	v_and_b32_e32 v3, 0x80, v6
	v_or_b32_e32 v2, 0x7e, v3
	s_delay_alu instid0(VALU_DEP_4)
	v_cmpx_ne_u64_e32 0x7f800000, v[11:12]
	s_xor_b32 s14, exec_lo, s0
	s_cbranch_execz .LBB11_139
; %bb.126:                              ;   in Loop: Header=BB11_29 Depth=1
	v_dual_mov_b32 v6, v10 :: v_dual_and_b32 v5, 0x7fffffff, v1
	s_mov_b32 s0, exec_lo
	s_delay_alu instid0(VALU_DEP_1)
	v_cmpx_gt_u64_e32 0x43e00001, v[5:6]
	s_xor_b32 s15, exec_lo, s0
	s_cbranch_execz .LBB11_138
; %bb.127:                              ;   in Loop: Header=BB11_29 Depth=1
	v_mov_b32_e32 v2, 0
	s_mov_b32 s16, exec_lo
	v_cmpx_ne_u32_e32 0, v1
	s_cbranch_execz .LBB11_137
; %bb.128:                              ;   in Loop: Header=BB11_29 Depth=1
	v_bfe_u32 v7, v1, 23, 8
	s_delay_alu instid0(VALU_DEP_1) | instskip(SKIP_2) | instid1(VALU_DEP_3)
	v_sub_nc_u32_e64 v1, 0x79, v7 clamp
	v_cmp_eq_u32_e32 vcc_lo, 0, v7
	v_add_nc_u32_e32 v7, 0xffffff88, v7
	v_cndmask_b32_e64 v17, v1, 0x78, vcc_lo
	v_or_b32_e32 v1, 0x800000, v9
	s_delay_alu instid0(VALU_DEP_2) | instskip(NEXT) | instid1(VALU_DEP_2)
	v_add_nc_u32_e32 v2, 20, v17
	v_cndmask_b32_e32 v9, v1, v9, vcc_lo
	v_add_nc_u32_e32 v5, 19, v17
	s_delay_alu instid0(VALU_DEP_3) | instskip(NEXT) | instid1(VALU_DEP_1)
	v_lshlrev_b64 v[1:2], v2, -1
	v_not_b32_e32 v6, v2
	s_delay_alu instid0(VALU_DEP_2) | instskip(NEXT) | instid1(VALU_DEP_4)
	v_not_b32_e32 v18, v1
	v_lshlrev_b64 v[1:2], v5, 1
	s_delay_alu instid0(VALU_DEP_3) | instskip(SKIP_1) | instid1(VALU_DEP_4)
	v_and_b32_e32 v6, 0, v6
	v_lshrrev_b64 v[11:12], v17, v[9:10]
	v_and_b32_e32 v5, v9, v18
	s_delay_alu instid0(VALU_DEP_1) | instskip(NEXT) | instid1(VALU_DEP_3)
	v_cmp_eq_u64_e64 s0, v[5:6], v[1:2]
	v_and_b32_e32 v9, 0x100000, v11
	v_cndmask_b32_e64 v1, v7, 0xffffff89, vcc_lo
	v_lshrrev_b32_e32 v2, 23, v11
	s_delay_alu instid0(VALU_DEP_3) | instskip(NEXT) | instid1(VALU_DEP_2)
	v_cmp_eq_u64_e64 s1, 0, v[9:10]
	v_add3_u32 v6, v1, v17, v2
	s_delay_alu instid0(VALU_DEP_2) | instskip(NEXT) | instid1(VALU_DEP_1)
	s_and_b32 vcc_lo, s1, s0
	v_add_nc_u32_e32 v7, -1, v6
	v_subrev_co_ci_u32_e32 v5, vcc_lo, 0, v11, vcc_lo
	s_mov_b32 s0, exec_lo
	s_delay_alu instid0(VALU_DEP_1) | instskip(NEXT) | instid1(VALU_DEP_1)
	v_and_b32_e32 v1, 0xfffff, v5
                                        ; implicit-def: $vgpr5
	v_add_co_u32 v1, vcc_lo, v1, v11
	v_add_co_ci_u32_e32 v2, vcc_lo, 0, v12, vcc_lo
	v_cmpx_ne_u32_e32 0, v7
	s_xor_b32 s0, exec_lo, s0
; %bb.129:                              ;   in Loop: Header=BB11_29 Depth=1
	s_delay_alu instid0(VALU_DEP_3) | instskip(SKIP_1) | instid1(VALU_DEP_2)
	v_and_b32_e32 v9, 0x1000000, v1
	v_bfe_u32 v5, v1, 24, 1
	v_cmp_eq_u64_e32 vcc_lo, 0, v[9:10]
	s_delay_alu instid0(VALU_DEP_2)
	v_lshrrev_b64 v[1:2], v5, v[1:2]
	v_cndmask_b32_e32 v5, v6, v7, vcc_lo
; %bb.130:                              ;   in Loop: Header=BB11_29 Depth=1
	s_and_not1_saveexec_b32 s0, s0
; %bb.131:                              ;   in Loop: Header=BB11_29 Depth=1
	s_delay_alu instid0(VALU_DEP_2)
	v_bfe_u32 v5, v1, 23, 1
; %bb.132:                              ;   in Loop: Header=BB11_29 Depth=1
	s_or_b32 exec_lo, exec_lo, s0
	s_delay_alu instid0(VALU_DEP_3) | instskip(NEXT) | instid1(VALU_DEP_2)
	v_lshrrev_b64 v[1:2], 20, v[1:2]
	v_cmp_gt_i32_e32 vcc_lo, 16, v5
	v_cmp_ne_u32_e64 s0, 0, v5
	s_delay_alu instid0(VALU_DEP_3) | instskip(NEXT) | instid1(VALU_DEP_1)
	v_dual_cndmask_b32 v2, 0, v2 :: v_dual_cndmask_b32 v1, 7, v1
	v_cmp_ne_u64_e32 vcc_lo, 0, v[1:2]
                                        ; implicit-def: $vgpr2
	s_delay_alu instid0(VALU_DEP_3) | instskip(NEXT) | instid1(SALU_CYCLE_1)
	s_or_b32 s0, s0, vcc_lo
	s_and_saveexec_b32 s1, s0
	s_delay_alu instid0(SALU_CYCLE_1)
	s_xor_b32 s0, exec_lo, s1
; %bb.133:                              ;   in Loop: Header=BB11_29 Depth=1
	v_min_i32_e32 v2, 15, v5
	s_delay_alu instid0(VALU_DEP_1) | instskip(NEXT) | instid1(VALU_DEP_1)
	v_lshl_or_b32 v2, v2, 3, v3
                                        ; implicit-def: $vgpr3
	v_and_or_b32 v2, v1, 7, v2
; %bb.134:                              ;   in Loop: Header=BB11_29 Depth=1
	s_and_not1_saveexec_b32 s0, s0
; %bb.135:                              ;   in Loop: Header=BB11_29 Depth=1
	v_mov_b32_e32 v2, v3
; %bb.136:                              ;   in Loop: Header=BB11_29 Depth=1
	s_or_b32 exec_lo, exec_lo, s0
.LBB11_137:                             ;   in Loop: Header=BB11_29 Depth=1
	s_delay_alu instid0(SALU_CYCLE_1)
	s_or_b32 exec_lo, exec_lo, s16
.LBB11_138:                             ;   in Loop: Header=BB11_29 Depth=1
	s_and_not1_saveexec_b32 s0, s15
	s_delay_alu instid0(SALU_CYCLE_1)
	s_or_b32 exec_lo, exec_lo, s0
                                        ; implicit-def: $vgpr6
.LBB11_139:                             ;   in Loop: Header=BB11_29 Depth=1
	s_and_not1_saveexec_b32 s0, s14
; %bb.140:                              ;   in Loop: Header=BB11_29 Depth=1
	v_cmp_eq_u64_e32 vcc_lo, 0, v[9:10]
	v_or_b32_e32 v1, 0x7f, v6
	s_delay_alu instid0(VALU_DEP_1)
	v_cndmask_b32_e32 v2, v1, v2, vcc_lo
; %bb.141:                              ;   in Loop: Header=BB11_29 Depth=1
	s_or_b32 exec_lo, exec_lo, s0
	v_lshrrev_b32_e32 v1, 16, v8
	v_fma_mixlo_f16 v3, v13, v4, 0 op_sel:[0,1,0] op_sel_hi:[0,1,0]
	s_mov_b32 s0, exec_lo
	v_dual_mov_b32 v7, v10 :: v_dual_add_nc_u32 v8, 6, v14
	s_delay_alu instid0(VALU_DEP_2) | instskip(SKIP_2) | instid1(VALU_DEP_1)
	v_mul_f16_e32 v1, v1, v3
	global_store_b8 v8, v2, s[2:3]
	v_cvt_f32_f16_e32 v1, v1
	v_mul_f32_e32 v1, v15, v1
	s_delay_alu instid0(VALU_DEP_1) | instskip(NEXT) | instid1(VALU_DEP_1)
	v_minmax_f32 v1, v1, s13, 0xc3e00000
	v_lshrrev_b32_e32 v5, 24, v1
	v_and_b32_e32 v6, 0x7f800000, v1
	v_and_b32_e32 v9, 0x7fffff, v1
	s_delay_alu instid0(VALU_DEP_3) | instskip(NEXT) | instid1(VALU_DEP_1)
	v_and_b32_e32 v3, 0x80, v5
	v_or_b32_e32 v4, 0x7e, v3
	s_delay_alu instid0(VALU_DEP_4)
	v_cmpx_ne_u64_e32 0x7f800000, v[6:7]
	s_xor_b32 s14, exec_lo, s0
	s_cbranch_execz .LBB11_155
; %bb.142:                              ;   in Loop: Header=BB11_29 Depth=1
	v_dual_mov_b32 v6, v10 :: v_dual_and_b32 v5, 0x7fffffff, v1
	s_mov_b32 s0, exec_lo
	s_delay_alu instid0(VALU_DEP_1)
	v_cmpx_gt_u64_e32 0x43e00001, v[5:6]
	s_xor_b32 s15, exec_lo, s0
	s_cbranch_execz .LBB11_154
; %bb.143:                              ;   in Loop: Header=BB11_29 Depth=1
	v_mov_b32_e32 v4, 0
	s_mov_b32 s16, exec_lo
	v_cmpx_ne_u32_e32 0, v1
	s_cbranch_execz .LBB11_153
; %bb.144:                              ;   in Loop: Header=BB11_29 Depth=1
	v_bfe_u32 v6, v1, 23, 8
	s_delay_alu instid0(VALU_DEP_1) | instskip(SKIP_2) | instid1(VALU_DEP_3)
	v_sub_nc_u32_e64 v1, 0x79, v6 clamp
	v_cmp_eq_u32_e32 vcc_lo, 0, v6
	v_add_nc_u32_e32 v6, 0xffffff88, v6
	v_cndmask_b32_e64 v11, v1, 0x78, vcc_lo
	v_or_b32_e32 v1, 0x800000, v9
	s_delay_alu instid0(VALU_DEP_1) | instskip(SKIP_1) | instid1(VALU_DEP_2)
	v_dual_cndmask_b32 v9, v1, v9 :: v_dual_add_nc_u32 v2, 20, v11
	v_add_nc_u32_e32 v4, 19, v11
	v_lshlrev_b64 v[1:2], v2, -1
	s_delay_alu instid0(VALU_DEP_3) | instskip(NEXT) | instid1(VALU_DEP_2)
	v_lshrrev_b64 v[7:8], v11, v[9:10]
	v_not_b32_e32 v5, v2
	s_delay_alu instid0(VALU_DEP_3) | instskip(SKIP_1) | instid1(VALU_DEP_3)
	v_not_b32_e32 v12, v1
	v_lshlrev_b64 v[1:2], v4, 1
	v_and_b32_e32 v5, 0, v5
	s_delay_alu instid0(VALU_DEP_3) | instskip(SKIP_1) | instid1(VALU_DEP_2)
	v_and_b32_e32 v4, v9, v12
	v_and_b32_e32 v9, 0x100000, v7
	v_cmp_eq_u64_e64 s0, v[4:5], v[1:2]
	s_delay_alu instid0(VALU_DEP_2) | instskip(SKIP_2) | instid1(VALU_DEP_3)
	v_cmp_eq_u64_e64 s1, 0, v[9:10]
	v_cndmask_b32_e64 v1, v6, 0xffffff89, vcc_lo
	v_lshrrev_b32_e32 v2, 23, v7
	s_and_b32 vcc_lo, s1, s0
	s_delay_alu instid0(VALU_DEP_1) | instskip(SKIP_2) | instid1(VALU_DEP_2)
	v_add3_u32 v4, v1, v11, v2
	v_subrev_co_ci_u32_e32 v5, vcc_lo, 0, v7, vcc_lo
	s_mov_b32 s0, exec_lo
	v_add_nc_u32_e32 v6, -1, v4
	s_delay_alu instid0(VALU_DEP_2) | instskip(NEXT) | instid1(VALU_DEP_1)
	v_and_b32_e32 v1, 0xfffff, v5
                                        ; implicit-def: $vgpr5
	v_add_co_u32 v1, vcc_lo, v1, v7
	v_add_co_ci_u32_e32 v2, vcc_lo, 0, v8, vcc_lo
	s_delay_alu instid0(VALU_DEP_4)
	v_cmpx_ne_u32_e32 0, v6
	s_xor_b32 s0, exec_lo, s0
; %bb.145:                              ;   in Loop: Header=BB11_29 Depth=1
	s_delay_alu instid0(VALU_DEP_3) | instskip(SKIP_1) | instid1(VALU_DEP_2)
	v_and_b32_e32 v9, 0x1000000, v1
	v_bfe_u32 v5, v1, 24, 1
	v_cmp_eq_u64_e32 vcc_lo, 0, v[9:10]
	s_delay_alu instid0(VALU_DEP_2)
	v_lshrrev_b64 v[1:2], v5, v[1:2]
	v_cndmask_b32_e32 v5, v4, v6, vcc_lo
; %bb.146:                              ;   in Loop: Header=BB11_29 Depth=1
	s_and_not1_saveexec_b32 s0, s0
; %bb.147:                              ;   in Loop: Header=BB11_29 Depth=1
	s_delay_alu instid0(VALU_DEP_2)
	v_bfe_u32 v5, v1, 23, 1
; %bb.148:                              ;   in Loop: Header=BB11_29 Depth=1
	s_or_b32 exec_lo, exec_lo, s0
	s_delay_alu instid0(VALU_DEP_3) | instskip(NEXT) | instid1(VALU_DEP_2)
	v_lshrrev_b64 v[1:2], 20, v[1:2]
	v_cmp_gt_i32_e32 vcc_lo, 16, v5
	v_cmp_ne_u32_e64 s0, 0, v5
                                        ; implicit-def: $vgpr4
	s_delay_alu instid0(VALU_DEP_3) | instskip(NEXT) | instid1(VALU_DEP_1)
	v_dual_cndmask_b32 v2, 0, v2 :: v_dual_cndmask_b32 v1, 7, v1
	v_cmp_ne_u64_e32 vcc_lo, 0, v[1:2]
	s_delay_alu instid0(VALU_DEP_3) | instskip(NEXT) | instid1(SALU_CYCLE_1)
	s_or_b32 s0, s0, vcc_lo
	s_and_saveexec_b32 s1, s0
	s_delay_alu instid0(SALU_CYCLE_1)
	s_xor_b32 s0, exec_lo, s1
; %bb.149:                              ;   in Loop: Header=BB11_29 Depth=1
	v_min_i32_e32 v2, 15, v5
	s_delay_alu instid0(VALU_DEP_1) | instskip(NEXT) | instid1(VALU_DEP_1)
	v_lshl_or_b32 v2, v2, 3, v3
                                        ; implicit-def: $vgpr3
	v_and_or_b32 v4, v1, 7, v2
; %bb.150:                              ;   in Loop: Header=BB11_29 Depth=1
	s_and_not1_saveexec_b32 s0, s0
; %bb.151:                              ;   in Loop: Header=BB11_29 Depth=1
	v_mov_b32_e32 v4, v3
; %bb.152:                              ;   in Loop: Header=BB11_29 Depth=1
	s_or_b32 exec_lo, exec_lo, s0
.LBB11_153:                             ;   in Loop: Header=BB11_29 Depth=1
	s_delay_alu instid0(SALU_CYCLE_1)
	s_or_b32 exec_lo, exec_lo, s16
.LBB11_154:                             ;   in Loop: Header=BB11_29 Depth=1
	s_and_not1_saveexec_b32 s0, s15
	s_delay_alu instid0(SALU_CYCLE_1)
	s_or_b32 exec_lo, exec_lo, s0
                                        ; implicit-def: $vgpr5
.LBB11_155:                             ;   in Loop: Header=BB11_29 Depth=1
	s_and_not1_saveexec_b32 s0, s14
	s_cbranch_execz .LBB11_28
; %bb.156:                              ;   in Loop: Header=BB11_29 Depth=1
	v_cmp_eq_u64_e32 vcc_lo, 0, v[9:10]
	v_or_b32_e32 v1, 0x7f, v5
	s_delay_alu instid0(VALU_DEP_1)
	v_cndmask_b32_e32 v4, v1, v4, vcc_lo
	s_branch .LBB11_28
.LBB11_157:
	s_nop 0
	s_sendmsg sendmsg(MSG_DEALLOC_VGPRS)
	s_endpgm
	.section	.rodata,"a",@progbits
	.p2align	6, 0x0
	.amdhsa_kernel _ZN4vllm32rms_norm_static_fp8_quant_kernelIN3c104HalfENS1_13Float8_e4m3fnELi8EEEvPT0_PKT_iS8_PKffii
		.amdhsa_group_segment_fixed_size 132
		.amdhsa_private_segment_fixed_size 0
		.amdhsa_kernarg_size 312
		.amdhsa_user_sgpr_count 15
		.amdhsa_user_sgpr_dispatch_ptr 0
		.amdhsa_user_sgpr_queue_ptr 0
		.amdhsa_user_sgpr_kernarg_segment_ptr 1
		.amdhsa_user_sgpr_dispatch_id 0
		.amdhsa_user_sgpr_private_segment_size 0
		.amdhsa_wavefront_size32 1
		.amdhsa_uses_dynamic_stack 0
		.amdhsa_enable_private_segment 0
		.amdhsa_system_sgpr_workgroup_id_x 1
		.amdhsa_system_sgpr_workgroup_id_y 0
		.amdhsa_system_sgpr_workgroup_id_z 0
		.amdhsa_system_sgpr_workgroup_info 0
		.amdhsa_system_vgpr_workitem_id 0
		.amdhsa_next_free_vgpr 25
		.amdhsa_next_free_sgpr 20
		.amdhsa_reserve_vcc 1
		.amdhsa_float_round_mode_32 0
		.amdhsa_float_round_mode_16_64 0
		.amdhsa_float_denorm_mode_32 3
		.amdhsa_float_denorm_mode_16_64 3
		.amdhsa_dx10_clamp 1
		.amdhsa_ieee_mode 1
		.amdhsa_fp16_overflow 0
		.amdhsa_workgroup_processor_mode 1
		.amdhsa_memory_ordered 1
		.amdhsa_forward_progress 0
		.amdhsa_shared_vgpr_count 0
		.amdhsa_exception_fp_ieee_invalid_op 0
		.amdhsa_exception_fp_denorm_src 0
		.amdhsa_exception_fp_ieee_div_zero 0
		.amdhsa_exception_fp_ieee_overflow 0
		.amdhsa_exception_fp_ieee_underflow 0
		.amdhsa_exception_fp_ieee_inexact 0
		.amdhsa_exception_int_div_zero 0
	.end_amdhsa_kernel
	.section	.text._ZN4vllm32rms_norm_static_fp8_quant_kernelIN3c104HalfENS1_13Float8_e4m3fnELi8EEEvPT0_PKT_iS8_PKffii,"axG",@progbits,_ZN4vllm32rms_norm_static_fp8_quant_kernelIN3c104HalfENS1_13Float8_e4m3fnELi8EEEvPT0_PKT_iS8_PKffii,comdat
.Lfunc_end11:
	.size	_ZN4vllm32rms_norm_static_fp8_quant_kernelIN3c104HalfENS1_13Float8_e4m3fnELi8EEEvPT0_PKT_iS8_PKffii, .Lfunc_end11-_ZN4vllm32rms_norm_static_fp8_quant_kernelIN3c104HalfENS1_13Float8_e4m3fnELi8EEEvPT0_PKT_iS8_PKffii
                                        ; -- End function
	.section	.AMDGPU.csdata,"",@progbits
; Kernel info:
; codeLenInByte = 6868
; NumSgprs: 22
; NumVgprs: 25
; ScratchSize: 0
; MemoryBound: 0
; FloatMode: 240
; IeeeMode: 1
; LDSByteSize: 132 bytes/workgroup (compile time only)
; SGPRBlocks: 2
; VGPRBlocks: 3
; NumSGPRsForWavesPerEU: 22
; NumVGPRsForWavesPerEU: 25
; Occupancy: 16
; WaveLimiterHint : 0
; COMPUTE_PGM_RSRC2:SCRATCH_EN: 0
; COMPUTE_PGM_RSRC2:USER_SGPR: 15
; COMPUTE_PGM_RSRC2:TRAP_HANDLER: 0
; COMPUTE_PGM_RSRC2:TGID_X_EN: 1
; COMPUTE_PGM_RSRC2:TGID_Y_EN: 0
; COMPUTE_PGM_RSRC2:TGID_Z_EN: 0
; COMPUTE_PGM_RSRC2:TIDIG_COMP_CNT: 0
	.section	.text._ZN4vllm32rms_norm_static_fp8_quant_kernelIN3c104HalfENS1_13Float8_e4m3fnELi4EEEvPT0_PKT_iS8_PKffii,"axG",@progbits,_ZN4vllm32rms_norm_static_fp8_quant_kernelIN3c104HalfENS1_13Float8_e4m3fnELi4EEEvPT0_PKT_iS8_PKffii,comdat
	.protected	_ZN4vllm32rms_norm_static_fp8_quant_kernelIN3c104HalfENS1_13Float8_e4m3fnELi4EEEvPT0_PKT_iS8_PKffii ; -- Begin function _ZN4vllm32rms_norm_static_fp8_quant_kernelIN3c104HalfENS1_13Float8_e4m3fnELi4EEEvPT0_PKT_iS8_PKffii
	.globl	_ZN4vllm32rms_norm_static_fp8_quant_kernelIN3c104HalfENS1_13Float8_e4m3fnELi4EEEvPT0_PKT_iS8_PKffii
	.p2align	8
	.type	_ZN4vllm32rms_norm_static_fp8_quant_kernelIN3c104HalfENS1_13Float8_e4m3fnELi4EEEvPT0_PKT_iS8_PKffii,@function
_ZN4vllm32rms_norm_static_fp8_quant_kernelIN3c104HalfENS1_13Float8_e4m3fnELi4EEEvPT0_PKT_iS8_PKffii: ; @_ZN4vllm32rms_norm_static_fp8_quant_kernelIN3c104HalfENS1_13Float8_e4m3fnELi4EEEvPT0_PKT_iS8_PKffii
; %bb.0:
	s_clause 0x3
	s_load_b32 s2, s[0:1], 0x10
	s_load_b64 s[4:5], s[0:1], 0x8
	s_load_b32 s8, s[0:1], 0x44
	s_load_b32 s13, s[0:1], 0x30
	s_mov_b32 s3, 0
	s_waitcnt lgkmcnt(0)
	s_mul_i32 s2, s15, s2
	s_delay_alu instid0(SALU_CYCLE_1) | instskip(NEXT) | instid1(SALU_CYCLE_1)
	s_lshl_b64 s[6:7], s[2:3], 1
	s_add_u32 s10, s4, s6
	s_addc_u32 s11, s5, s7
	s_and_b32 s2, s10, 7
	s_and_b32 s12, s8, 0xffff
	s_cmp_lg_u64 s[2:3], 0
	s_cselect_b32 s2, -1, 0
	s_and_b32 s3, s13, 3
	s_delay_alu instid0(SALU_CYCLE_1) | instskip(SKIP_1) | instid1(SALU_CYCLE_1)
	s_cmp_lg_u32 s3, 0
	s_cselect_b32 s3, -1, 0
	s_or_b32 s2, s2, s3
	s_delay_alu instid0(SALU_CYCLE_1)
	s_and_b32 vcc_lo, exec_lo, s2
	s_cbranch_vccz .LBB12_14
; %bb.1:
	s_sub_i32 s2, 0, s10
	v_mov_b32_e32 v4, 0
	s_bfe_u32 s2, s2, 0x20001
	s_mov_b32 s3, exec_lo
	s_min_i32 s8, s2, s13
	s_delay_alu instid0(SALU_CYCLE_1)
	v_cmpx_gt_i32_e64 s8, v0
	s_cbranch_execz .LBB12_5
; %bb.2:
	v_dual_mov_b32 v4, 0 :: v_dual_lshlrev_b32 v1, 1, v0
	s_add_u32 s2, s4, s6
	s_addc_u32 s9, s5, s7
	v_mov_b32_e32 v3, v0
	s_delay_alu instid0(VALU_DEP_2) | instskip(NEXT) | instid1(VALU_DEP_1)
	v_add_co_u32 v1, s2, s2, v1
	v_add_co_ci_u32_e64 v2, null, s9, 0, s2
	s_mov_b32 s9, 0
	s_lshl_b32 s14, s12, 1
.LBB12_3:                               ; =>This Inner Loop Header: Depth=1
	global_load_u16 v5, v[1:2], off
	v_add_nc_u32_e32 v3, s12, v3
	v_add_co_u32 v1, vcc_lo, v1, s14
	v_add_co_ci_u32_e32 v2, vcc_lo, 0, v2, vcc_lo
	s_delay_alu instid0(VALU_DEP_3) | instskip(NEXT) | instid1(VALU_DEP_1)
	v_cmp_le_i32_e64 s2, s8, v3
	s_or_b32 s9, s2, s9
	s_waitcnt vmcnt(0)
	v_fma_mix_f32 v4, v5, v5, v4 op_sel_hi:[1,1,0]
	s_and_not1_b32 exec_lo, exec_lo, s9
	s_cbranch_execnz .LBB12_3
; %bb.4:
	s_or_b32 exec_lo, exec_lo, s9
.LBB12_5:
	s_delay_alu instid0(SALU_CYCLE_1)
	s_or_b32 exec_lo, exec_lo, s3
	s_sub_i32 s3, s13, s8
	s_ashr_i32 s9, s8, 31
	s_ashr_i32 s2, s3, 31
	s_mov_b32 s16, exec_lo
	s_lshr_b32 s2, s2, 30
	s_delay_alu instid0(SALU_CYCLE_1) | instskip(NEXT) | instid1(SALU_CYCLE_1)
	s_add_i32 s2, s3, s2
	s_ashr_i32 s14, s2, 2
	s_delay_alu instid0(SALU_CYCLE_1)
	v_cmpx_gt_i32_e64 s14, v0
	s_cbranch_execz .LBB12_9
; %bb.6:
	v_lshlrev_b32_e32 v1, 3, v0
	s_lshl_b64 s[18:19], s[8:9], 1
	s_add_u32 s2, s4, s6
	s_addc_u32 s17, s5, s7
	s_add_u32 s2, s2, s18
	s_addc_u32 s17, s17, s19
	v_add_co_u32 v1, s2, s2, v1
	s_delay_alu instid0(VALU_DEP_1) | instskip(SKIP_1) | instid1(VALU_DEP_3)
	v_add_co_ci_u32_e64 v2, null, s17, 0, s2
	v_mov_b32_e32 v3, v0
	v_add_co_u32 v1, vcc_lo, v1, 4
	s_delay_alu instid0(VALU_DEP_3)
	v_add_co_ci_u32_e32 v2, vcc_lo, 0, v2, vcc_lo
	s_mov_b32 s17, 0
	s_lshl_b32 s18, s12, 3
	.p2align	6
.LBB12_7:                               ; =>This Inner Loop Header: Depth=1
	global_load_b64 v[5:6], v[1:2], off offset:-4
	v_add_nc_u32_e32 v3, s12, v3
	v_add_co_u32 v1, vcc_lo, v1, s18
	v_add_co_ci_u32_e32 v2, vcc_lo, 0, v2, vcc_lo
	s_delay_alu instid0(VALU_DEP_3) | instskip(NEXT) | instid1(VALU_DEP_1)
	v_cmp_le_i32_e64 s2, s14, v3
	s_or_b32 s17, s2, s17
	s_waitcnt vmcnt(0)
	v_fma_mix_f32 v4, v5, v5, v4 op_sel_hi:[1,1,0]
	s_delay_alu instid0(VALU_DEP_1) | instskip(NEXT) | instid1(VALU_DEP_1)
	v_fma_mix_f32 v4, v5, v5, v4 op_sel:[1,1,0] op_sel_hi:[1,1,0]
	v_fma_mix_f32 v4, v6, v6, v4 op_sel_hi:[1,1,0]
	s_delay_alu instid0(VALU_DEP_1)
	v_fma_mix_f32 v4, v6, v6, v4 op_sel:[1,1,0] op_sel_hi:[1,1,0]
	s_and_not1_b32 exec_lo, exec_lo, s17
	s_cbranch_execnz .LBB12_7
; %bb.8:
	s_or_b32 exec_lo, exec_lo, s17
.LBB12_9:
	s_delay_alu instid0(SALU_CYCLE_1) | instskip(SKIP_2) | instid1(VALU_DEP_1)
	s_or_b32 exec_lo, exec_lo, s16
	v_lshl_add_u32 v1, s14, 2, v0
	s_mov_b32 s14, exec_lo
	v_cmpx_gt_i32_e64 s3, v1
	s_cbranch_execz .LBB12_13
; %bb.10:
	v_ashrrev_i32_e32 v2, 31, v1
	s_lshl_b64 s[8:9], s[8:9], 1
	s_add_u32 s2, s4, s6
	s_addc_u32 s16, s5, s7
	s_add_u32 s2, s2, s8
	v_lshlrev_b64 v[2:3], 1, v[1:2]
	s_addc_u32 s8, s16, s9
	s_lshl_b32 s9, s12, 1
	s_delay_alu instid0(VALU_DEP_1) | instskip(NEXT) | instid1(VALU_DEP_2)
	v_add_co_u32 v2, vcc_lo, s2, v2
	v_add_co_ci_u32_e32 v3, vcc_lo, s8, v3, vcc_lo
	s_mov_b32 s8, 0
.LBB12_11:                              ; =>This Inner Loop Header: Depth=1
	global_load_u16 v5, v[2:3], off
	v_add_nc_u32_e32 v1, s12, v1
	v_add_co_u32 v2, vcc_lo, v2, s9
	v_add_co_ci_u32_e32 v3, vcc_lo, 0, v3, vcc_lo
	s_delay_alu instid0(VALU_DEP_3) | instskip(NEXT) | instid1(VALU_DEP_1)
	v_cmp_le_i32_e64 s2, s3, v1
	s_or_b32 s8, s2, s8
	s_waitcnt vmcnt(0)
	v_fma_mix_f32 v4, v5, v5, v4 op_sel_hi:[1,1,0]
	s_and_not1_b32 exec_lo, exec_lo, s8
	s_cbranch_execnz .LBB12_11
; %bb.12:
	s_or_b32 exec_lo, exec_lo, s8
.LBB12_13:
	s_delay_alu instid0(SALU_CYCLE_1)
	s_or_b32 exec_lo, exec_lo, s14
	s_branch .LBB12_20
.LBB12_14:
                                        ; implicit-def: $vgpr4
	s_cbranch_execz .LBB12_20
; %bb.15:
	v_mov_b32_e32 v4, 0
	s_ashr_i32 s8, s13, 2
	s_mov_b32 s3, exec_lo
	v_cmpx_gt_i32_e64 s8, v0
	s_cbranch_execz .LBB12_19
; %bb.16:
	v_dual_mov_b32 v4, 0 :: v_dual_lshlrev_b32 v1, 3, v0
	s_add_u32 s2, s4, s6
	s_addc_u32 s4, s5, s7
	v_mov_b32_e32 v3, v0
	s_delay_alu instid0(VALU_DEP_2) | instskip(NEXT) | instid1(VALU_DEP_1)
	v_add_co_u32 v1, s2, s2, v1
	v_add_co_ci_u32_e64 v2, null, s4, 0, s2
	s_mov_b32 s4, 0
	s_delay_alu instid0(VALU_DEP_2) | instskip(NEXT) | instid1(VALU_DEP_2)
	v_add_co_u32 v1, vcc_lo, v1, 4
	v_add_co_ci_u32_e32 v2, vcc_lo, 0, v2, vcc_lo
	s_lshl_b32 s5, s12, 3
	.p2align	6
.LBB12_17:                              ; =>This Inner Loop Header: Depth=1
	global_load_b64 v[5:6], v[1:2], off offset:-4
	v_add_nc_u32_e32 v3, s12, v3
	v_add_co_u32 v1, vcc_lo, v1, s5
	v_add_co_ci_u32_e32 v2, vcc_lo, 0, v2, vcc_lo
	s_delay_alu instid0(VALU_DEP_3) | instskip(NEXT) | instid1(VALU_DEP_1)
	v_cmp_le_i32_e64 s2, s8, v3
	s_or_b32 s4, s2, s4
	s_waitcnt vmcnt(0)
	v_fma_mix_f32 v4, v5, v5, v4 op_sel_hi:[1,1,0]
	s_delay_alu instid0(VALU_DEP_1) | instskip(NEXT) | instid1(VALU_DEP_1)
	v_fma_mix_f32 v4, v5, v5, v4 op_sel:[1,1,0] op_sel_hi:[1,1,0]
	v_fma_mix_f32 v4, v6, v6, v4 op_sel_hi:[1,1,0]
	s_delay_alu instid0(VALU_DEP_1)
	v_fma_mix_f32 v4, v6, v6, v4 op_sel:[1,1,0] op_sel_hi:[1,1,0]
	s_and_not1_b32 exec_lo, exec_lo, s4
	s_cbranch_execnz .LBB12_17
; %bb.18:
	s_or_b32 exec_lo, exec_lo, s4
.LBB12_19:
	s_delay_alu instid0(SALU_CYCLE_1)
	s_or_b32 exec_lo, exec_lo, s3
.LBB12_20:
	v_mbcnt_lo_u32_b32 v1, -1, 0
	v_and_b32_e32 v3, 0x3e0, v0
	s_mov_b32 s2, exec_lo
	s_delay_alu instid0(VALU_DEP_2) | instskip(NEXT) | instid1(VALU_DEP_2)
	v_cmp_ne_u32_e32 vcc_lo, 31, v1
	v_sub_nc_u32_e64 v12, s12, v3 clamp
	v_add_nc_u32_e32 v3, 1, v1
	v_add_co_ci_u32_e32 v2, vcc_lo, 0, v1, vcc_lo
	v_cmp_gt_u32_e32 vcc_lo, 30, v1
	s_delay_alu instid0(VALU_DEP_2)
	v_lshlrev_b32_e32 v2, 2, v2
	v_cndmask_b32_e64 v6, 0, 1, vcc_lo
	v_cmp_lt_u32_e32 vcc_lo, v3, v12
	ds_bpermute_b32 v5, v2, v4
	s_waitcnt lgkmcnt(0)
	v_dual_add_f32 v7, v4, v5 :: v_dual_lshlrev_b32 v6, 1, v6
	s_delay_alu instid0(VALU_DEP_1) | instskip(NEXT) | instid1(VALU_DEP_2)
	v_cndmask_b32_e32 v7, v4, v7, vcc_lo
	v_add_lshl_u32 v5, v6, v1, 2
	v_cmp_gt_u32_e32 vcc_lo, 28, v1
	ds_bpermute_b32 v6, v5, v7
	v_cndmask_b32_e64 v4, 0, 1, vcc_lo
	s_delay_alu instid0(VALU_DEP_1) | instskip(SKIP_1) | instid1(VALU_DEP_1)
	v_lshlrev_b32_e32 v8, 2, v4
	v_add_nc_u32_e32 v4, 2, v1
	v_cmp_lt_u32_e32 vcc_lo, v4, v12
	s_waitcnt lgkmcnt(0)
	v_add_f32_e32 v9, v7, v6
	v_add_lshl_u32 v6, v8, v1, 2
	s_delay_alu instid0(VALU_DEP_2) | instskip(SKIP_2) | instid1(VALU_DEP_1)
	v_cndmask_b32_e32 v9, v7, v9, vcc_lo
	v_cmp_gt_u32_e32 vcc_lo, 24, v1
	v_cndmask_b32_e64 v7, 0, 1, vcc_lo
	v_lshlrev_b32_e32 v10, 3, v7
	ds_bpermute_b32 v8, v6, v9
	v_add_nc_u32_e32 v7, 4, v1
	s_delay_alu instid0(VALU_DEP_1) | instskip(SKIP_3) | instid1(VALU_DEP_2)
	v_cmp_lt_u32_e32 vcc_lo, v7, v12
	s_waitcnt lgkmcnt(0)
	v_add_f32_e32 v11, v9, v8
	v_add_lshl_u32 v8, v10, v1, 2
	v_cndmask_b32_e32 v11, v9, v11, vcc_lo
	v_cmp_gt_u32_e32 vcc_lo, 16, v1
	ds_bpermute_b32 v10, v8, v11
	v_cndmask_b32_e64 v9, 0, 1, vcc_lo
	s_delay_alu instid0(VALU_DEP_1) | instskip(SKIP_1) | instid1(VALU_DEP_1)
	v_lshlrev_b32_e32 v13, 4, v9
	v_add_nc_u32_e32 v9, 8, v1
	v_cmp_lt_u32_e32 vcc_lo, v9, v12
	s_waitcnt lgkmcnt(0)
	v_add_f32_e32 v14, v11, v10
	v_add_lshl_u32 v10, v13, v1, 2
	s_delay_alu instid0(VALU_DEP_2)
	v_cndmask_b32_e32 v13, v11, v14, vcc_lo
	v_add_nc_u32_e32 v11, 16, v1
	ds_bpermute_b32 v14, v10, v13
	v_cmp_lt_u32_e32 vcc_lo, v11, v12
	s_waitcnt lgkmcnt(0)
	v_add_f32_e32 v14, v13, v14
	s_delay_alu instid0(VALU_DEP_1)
	v_cndmask_b32_e32 v12, v13, v14, vcc_lo
	v_cmpx_eq_u32_e32 0, v1
	s_cbranch_execz .LBB12_22
; %bb.21:
	v_lshrrev_b32_e32 v13, 3, v0
	s_delay_alu instid0(VALU_DEP_1)
	v_and_b32_e32 v13, 0x7c, v13
	ds_store_b32 v13, v12
.LBB12_22:
	s_or_b32 exec_lo, exec_lo, s2
	s_delay_alu instid0(SALU_CYCLE_1)
	s_mov_b32 s2, exec_lo
	s_waitcnt lgkmcnt(0)
	s_barrier
	buffer_gl0_inv
	v_cmpx_gt_u32_e32 32, v0
	s_cbranch_execz .LBB12_24
; %bb.23:
	v_lshlrev_b32_e32 v1, 2, v1
	s_add_i32 s3, s12, 31
	s_delay_alu instid0(SALU_CYCLE_1) | instskip(NEXT) | instid1(SALU_CYCLE_1)
	s_lshr_b32 s3, s3, 5
	v_cmp_gt_u32_e32 vcc_lo, s3, v3
	ds_load_b32 v1, v1
	s_waitcnt lgkmcnt(0)
	ds_bpermute_b32 v2, v2, v1
	s_waitcnt lgkmcnt(0)
	v_add_f32_e32 v2, v1, v2
	s_delay_alu instid0(VALU_DEP_1) | instskip(SKIP_4) | instid1(VALU_DEP_1)
	v_cndmask_b32_e32 v1, v1, v2, vcc_lo
	v_cmp_gt_u32_e32 vcc_lo, s3, v4
	ds_bpermute_b32 v2, v5, v1
	s_waitcnt lgkmcnt(0)
	v_add_f32_e32 v2, v1, v2
	v_cndmask_b32_e32 v1, v1, v2, vcc_lo
	v_cmp_gt_u32_e32 vcc_lo, s3, v7
	ds_bpermute_b32 v2, v6, v1
	s_waitcnt lgkmcnt(0)
	v_add_f32_e32 v2, v1, v2
	s_delay_alu instid0(VALU_DEP_1) | instskip(SKIP_4) | instid1(VALU_DEP_1)
	v_cndmask_b32_e32 v1, v1, v2, vcc_lo
	v_cmp_gt_u32_e32 vcc_lo, s3, v9
	ds_bpermute_b32 v2, v8, v1
	s_waitcnt lgkmcnt(0)
	v_add_f32_e32 v2, v1, v2
	v_cndmask_b32_e32 v1, v1, v2, vcc_lo
	v_cmp_gt_u32_e32 vcc_lo, s3, v11
	ds_bpermute_b32 v2, v10, v1
	s_waitcnt lgkmcnt(0)
	v_add_f32_e32 v2, v1, v2
	s_delay_alu instid0(VALU_DEP_1)
	v_cndmask_b32_e32 v12, v1, v2, vcc_lo
.LBB12_24:
	s_or_b32 exec_lo, exec_lo, s2
	s_delay_alu instid0(SALU_CYCLE_1)
	s_mov_b32 s2, exec_lo
	v_cmpx_eq_u32_e32 0, v0
	s_cbranch_execz .LBB12_26
; %bb.25:
	v_cvt_f32_i32_e32 v1, s13
	s_load_b32 s3, s[0:1], 0x28
	s_delay_alu instid0(VALU_DEP_1) | instskip(SKIP_1) | instid1(VALU_DEP_2)
	v_div_scale_f32 v2, null, v1, v1, v12
	v_div_scale_f32 v5, vcc_lo, v12, v1, v12
	v_rcp_f32_e32 v3, v2
	s_waitcnt_depctr 0xfff
	v_fma_f32 v4, -v2, v3, 1.0
	s_delay_alu instid0(VALU_DEP_1) | instskip(NEXT) | instid1(VALU_DEP_1)
	v_fmac_f32_e32 v3, v4, v3
	v_mul_f32_e32 v4, v5, v3
	s_delay_alu instid0(VALU_DEP_1) | instskip(NEXT) | instid1(VALU_DEP_1)
	v_fma_f32 v6, -v2, v4, v5
	v_fmac_f32_e32 v4, v6, v3
	s_delay_alu instid0(VALU_DEP_1) | instskip(NEXT) | instid1(VALU_DEP_1)
	v_fma_f32 v2, -v2, v4, v5
	v_div_fmas_f32 v2, v2, v3, v4
	s_delay_alu instid0(VALU_DEP_1) | instskip(SKIP_1) | instid1(VALU_DEP_1)
	v_div_fixup_f32 v1, v2, v1, v12
	s_waitcnt lgkmcnt(0)
	v_add_f32_e32 v1, s3, v1
	s_delay_alu instid0(VALU_DEP_1) | instskip(SKIP_1) | instid1(VALU_DEP_2)
	v_mul_f32_e32 v2, 0x4b800000, v1
	v_cmp_gt_f32_e32 vcc_lo, 0x800000, v1
	v_cndmask_b32_e32 v1, v1, v2, vcc_lo
	s_delay_alu instid0(VALU_DEP_1) | instskip(SKIP_2) | instid1(VALU_DEP_1)
	v_rsq_f32_e32 v1, v1
	s_waitcnt_depctr 0xfff
	v_mul_f32_e32 v2, 0x45800000, v1
	v_dual_cndmask_b32 v1, v1, v2 :: v_dual_mov_b32 v2, 0
	ds_store_b32 v2, v1 offset:128
.LBB12_26:
	s_or_b32 exec_lo, exec_lo, s2
	s_ashr_i32 s2, s13, 31
	s_waitcnt lgkmcnt(0)
	s_lshr_b32 s2, s2, 30
	s_barrier
	s_add_i32 s2, s13, s2
	buffer_gl0_inv
	s_ashr_i32 s8, s2, 2
	s_mov_b32 s2, exec_lo
	v_cmpx_gt_i32_e64 s8, v0
	s_cbranch_execz .LBB12_93
; %bb.27:
	s_clause 0x1
	s_load_b128 s[4:7], s[0:1], 0x18
	s_load_b64 s[2:3], s[0:1], 0x0
	s_mul_i32 s15, s15, s13
	s_lshl_b32 s9, s12, 3
	v_lshl_add_u32 v10, v0, 2, s15
	s_mov_b32 s13, 0x43e00000
	v_lshlrev_b32_e32 v12, 3, v0
	s_waitcnt lgkmcnt(0)
	s_load_b32 s7, s[6:7], 0x0
	s_lshl_b32 s6, s12, 2
	s_waitcnt lgkmcnt(0)
	v_div_scale_f32 v1, null, s7, s7, 1.0
	v_div_scale_f32 v4, vcc_lo, 1.0, s7, 1.0
	s_delay_alu instid0(VALU_DEP_2) | instskip(SKIP_2) | instid1(VALU_DEP_1)
	v_rcp_f32_e32 v3, v1
	s_waitcnt_depctr 0xfff
	v_fma_f32 v2, -v1, v3, 1.0
	v_dual_fmac_f32 v3, v2, v3 :: v_dual_mov_b32 v2, 0
	s_delay_alu instid0(VALU_DEP_1) | instskip(SKIP_2) | instid1(VALU_DEP_1)
	v_mul_f32_e32 v5, v4, v3
	ds_load_b32 v9, v2 offset:128
	v_fma_f32 v6, -v1, v5, v4
	v_fmac_f32_e32 v5, v6, v3
	s_delay_alu instid0(VALU_DEP_1) | instskip(NEXT) | instid1(VALU_DEP_1)
	v_fma_f32 v1, -v1, v5, v4
	v_div_fmas_f32 v1, v1, v3, v5
	s_delay_alu instid0(VALU_DEP_1)
	v_div_fixup_f32 v11, v1, s7, 1.0
	s_mov_b32 s7, 0
	s_branch .LBB12_29
.LBB12_28:                              ;   in Loop: Header=BB12_29 Depth=1
	s_or_b32 exec_lo, exec_lo, s0
	v_add_nc_u32_e32 v0, s12, v0
	s_add_u32 s4, s4, s9
	v_add_nc_u32_e32 v1, 3, v10
	v_add_nc_u32_e32 v10, s6, v10
	s_addc_u32 s5, s5, 0
	v_cmp_le_i32_e32 vcc_lo, s8, v0
	s_add_u32 s10, s10, s9
	s_addc_u32 s11, s11, 0
	global_store_b8 v1, v4, s[2:3]
	s_or_b32 s7, vcc_lo, s7
	s_delay_alu instid0(SALU_CYCLE_1)
	s_and_not1_b32 exec_lo, exec_lo, s7
	s_cbranch_execz .LBB12_93
.LBB12_29:                              ; =>This Inner Loop Header: Depth=1
	v_add_co_u32 v3, s0, s10, v12
	s_delay_alu instid0(VALU_DEP_1) | instskip(SKIP_1) | instid1(VALU_DEP_1)
	v_add_co_ci_u32_e64 v4, null, s11, 0, s0
	v_add_co_u32 v5, s0, s4, v12
	v_add_co_ci_u32_e64 v6, null, s5, 0, s0
	global_load_b64 v[3:4], v[3:4], off
	s_mov_b32 s0, exec_lo
	v_mov_b32_e32 v16, v2
	global_load_b64 v[5:6], v[5:6], off
	s_waitcnt vmcnt(1) lgkmcnt(0)
	v_fma_mixlo_f16 v1, v9, v3, 0 op_sel_hi:[0,1,0]
	s_waitcnt vmcnt(0)
	s_delay_alu instid0(VALU_DEP_1) | instskip(NEXT) | instid1(VALU_DEP_1)
	v_mul_f16_e32 v1, v5, v1
	v_cvt_f32_f16_e32 v1, v1
	s_delay_alu instid0(VALU_DEP_1) | instskip(NEXT) | instid1(VALU_DEP_1)
	v_mul_f32_e32 v1, v11, v1
	v_minmax_f32 v7, v1, s13, 0xc3e00000
	s_delay_alu instid0(VALU_DEP_1) | instskip(SKIP_2) | instid1(VALU_DEP_3)
	v_lshrrev_b32_e32 v14, 24, v7
	v_and_b32_e32 v15, 0x7f800000, v7
	v_and_b32_e32 v1, 0x7fffff, v7
	;; [unrolled: 1-line block ×3, first 2 shown]
	s_delay_alu instid0(VALU_DEP_1) | instskip(NEXT) | instid1(VALU_DEP_4)
	v_or_b32_e32 v8, 0x7e, v13
	v_cmpx_ne_u64_e32 0x7f800000, v[15:16]
	s_xor_b32 s14, exec_lo, s0
	s_cbranch_execz .LBB12_43
; %bb.30:                               ;   in Loop: Header=BB12_29 Depth=1
	v_dual_mov_b32 v15, v2 :: v_dual_and_b32 v14, 0x7fffffff, v7
	s_mov_b32 s0, exec_lo
	s_delay_alu instid0(VALU_DEP_1)
	v_cmpx_gt_u64_e32 0x43e00001, v[14:15]
	s_xor_b32 s15, exec_lo, s0
	s_cbranch_execz .LBB12_42
; %bb.31:                               ;   in Loop: Header=BB12_29 Depth=1
	v_mov_b32_e32 v8, 0
	s_mov_b32 s16, exec_lo
	v_cmpx_ne_u32_e32 0, v7
	s_cbranch_execz .LBB12_41
; %bb.32:                               ;   in Loop: Header=BB12_29 Depth=1
	v_bfe_u32 v18, v7, 23, 8
	s_delay_alu instid0(VALU_DEP_1) | instskip(SKIP_2) | instid1(VALU_DEP_3)
	v_sub_nc_u32_e64 v7, 0x79, v18 clamp
	v_cmp_eq_u32_e32 vcc_lo, 0, v18
	v_add_nc_u32_e32 v18, 0xffffff88, v18
	v_cndmask_b32_e64 v19, v7, 0x78, vcc_lo
	v_or_b32_e32 v7, 0x800000, v1
	s_delay_alu instid0(VALU_DEP_1) | instskip(SKIP_1) | instid1(VALU_DEP_2)
	v_dual_cndmask_b32 v1, v7, v1 :: v_dual_add_nc_u32 v8, 20, v19
	v_add_nc_u32_e32 v14, 19, v19
	v_lshlrev_b64 v[7:8], v8, -1
	s_delay_alu instid0(VALU_DEP_3) | instskip(NEXT) | instid1(VALU_DEP_2)
	v_lshrrev_b64 v[16:17], v19, v[1:2]
	v_not_b32_e32 v15, v8
	s_delay_alu instid0(VALU_DEP_3) | instskip(SKIP_1) | instid1(VALU_DEP_3)
	v_not_b32_e32 v20, v7
	v_lshlrev_b64 v[7:8], v14, 1
	v_and_b32_e32 v15, 0, v15
	s_delay_alu instid0(VALU_DEP_3) | instskip(SKIP_1) | instid1(VALU_DEP_2)
	v_and_b32_e32 v14, v1, v20
	v_and_b32_e32 v1, 0x100000, v16
	v_cmp_eq_u64_e64 s0, v[14:15], v[7:8]
	s_delay_alu instid0(VALU_DEP_2) | instskip(SKIP_2) | instid1(VALU_DEP_3)
	v_cmp_eq_u64_e64 s1, 0, v[1:2]
	v_cndmask_b32_e64 v1, v18, 0xffffff89, vcc_lo
	v_lshrrev_b32_e32 v7, 23, v16
	s_and_b32 vcc_lo, s1, s0
	s_delay_alu instid0(VALU_DEP_1) | instskip(SKIP_2) | instid1(VALU_DEP_2)
	v_add3_u32 v14, v1, v19, v7
	v_subrev_co_ci_u32_e32 v8, vcc_lo, 0, v16, vcc_lo
	s_mov_b32 s0, exec_lo
	v_add_nc_u32_e32 v15, -1, v14
	s_delay_alu instid0(VALU_DEP_2) | instskip(NEXT) | instid1(VALU_DEP_1)
	v_and_b32_e32 v1, 0xfffff, v8
	v_add_co_u32 v7, vcc_lo, v1, v16
	v_add_co_ci_u32_e32 v8, vcc_lo, 0, v17, vcc_lo
                                        ; implicit-def: $vgpr1
	s_delay_alu instid0(VALU_DEP_4)
	v_cmpx_ne_u32_e32 0, v15
	s_xor_b32 s0, exec_lo, s0
; %bb.33:                               ;   in Loop: Header=BB12_29 Depth=1
	s_delay_alu instid0(VALU_DEP_3) | instskip(SKIP_1) | instid1(VALU_DEP_2)
	v_and_b32_e32 v1, 0x1000000, v7
	v_bfe_u32 v16, v7, 24, 1
	v_cmp_eq_u64_e32 vcc_lo, 0, v[1:2]
	s_delay_alu instid0(VALU_DEP_2)
	v_lshrrev_b64 v[7:8], v16, v[7:8]
	v_cndmask_b32_e32 v1, v14, v15, vcc_lo
; %bb.34:                               ;   in Loop: Header=BB12_29 Depth=1
	s_and_not1_saveexec_b32 s0, s0
; %bb.35:                               ;   in Loop: Header=BB12_29 Depth=1
	s_delay_alu instid0(VALU_DEP_2)
	v_bfe_u32 v1, v7, 23, 1
; %bb.36:                               ;   in Loop: Header=BB12_29 Depth=1
	s_or_b32 exec_lo, exec_lo, s0
	s_delay_alu instid0(VALU_DEP_3) | instskip(NEXT) | instid1(VALU_DEP_2)
	v_lshrrev_b64 v[7:8], 20, v[7:8]
	v_cmp_gt_i32_e32 vcc_lo, 16, v1
	v_cmp_ne_u32_e64 s0, 0, v1
	s_delay_alu instid0(VALU_DEP_3) | instskip(NEXT) | instid1(VALU_DEP_1)
	v_dual_cndmask_b32 v8, 0, v8 :: v_dual_cndmask_b32 v7, 7, v7
	v_cmp_ne_u64_e32 vcc_lo, 0, v[7:8]
                                        ; implicit-def: $vgpr8
	s_delay_alu instid0(VALU_DEP_3) | instskip(NEXT) | instid1(SALU_CYCLE_1)
	s_or_b32 s0, s0, vcc_lo
	s_and_saveexec_b32 s1, s0
	s_delay_alu instid0(SALU_CYCLE_1)
	s_xor_b32 s0, exec_lo, s1
; %bb.37:                               ;   in Loop: Header=BB12_29 Depth=1
	v_min_i32_e32 v1, 15, v1
	s_delay_alu instid0(VALU_DEP_1) | instskip(NEXT) | instid1(VALU_DEP_1)
	v_lshl_or_b32 v1, v1, 3, v13
                                        ; implicit-def: $vgpr13
	v_and_or_b32 v8, v7, 7, v1
; %bb.38:                               ;   in Loop: Header=BB12_29 Depth=1
	s_and_not1_saveexec_b32 s0, s0
; %bb.39:                               ;   in Loop: Header=BB12_29 Depth=1
	v_mov_b32_e32 v8, v13
; %bb.40:                               ;   in Loop: Header=BB12_29 Depth=1
	s_or_b32 exec_lo, exec_lo, s0
.LBB12_41:                              ;   in Loop: Header=BB12_29 Depth=1
	s_delay_alu instid0(SALU_CYCLE_1)
	s_or_b32 exec_lo, exec_lo, s16
.LBB12_42:                              ;   in Loop: Header=BB12_29 Depth=1
	s_and_not1_saveexec_b32 s0, s15
	s_delay_alu instid0(SALU_CYCLE_1)
	s_or_b32 exec_lo, exec_lo, s0
                                        ; implicit-def: $vgpr14
.LBB12_43:                              ;   in Loop: Header=BB12_29 Depth=1
	s_and_not1_saveexec_b32 s0, s14
; %bb.44:                               ;   in Loop: Header=BB12_29 Depth=1
	v_cmp_eq_u64_e32 vcc_lo, 0, v[1:2]
	v_or_b32_e32 v7, 0x7f, v14
	s_delay_alu instid0(VALU_DEP_1)
	v_cndmask_b32_e32 v8, v7, v8, vcc_lo
; %bb.45:                               ;   in Loop: Header=BB12_29 Depth=1
	s_or_b32 exec_lo, exec_lo, s0
	v_lshrrev_b32_e32 v1, 16, v5
	v_fma_mixlo_f16 v3, v9, v3, 0 op_sel:[0,1,0] op_sel_hi:[0,1,0]
	v_mov_b32_e32 v15, v2
	global_store_b8 v10, v8, s[2:3]
	s_mov_b32 s0, exec_lo
	v_mul_f16_e32 v1, v1, v3
	s_delay_alu instid0(VALU_DEP_1) | instskip(NEXT) | instid1(VALU_DEP_1)
	v_cvt_f32_f16_e32 v1, v1
	v_mul_f32_e32 v1, v11, v1
	s_delay_alu instid0(VALU_DEP_1) | instskip(NEXT) | instid1(VALU_DEP_1)
	v_minmax_f32 v7, v1, s13, 0xc3e00000
	v_and_b32_e32 v14, 0x7f800000, v7
	v_lshrrev_b32_e32 v13, 24, v7
	v_and_b32_e32 v1, 0x7fffff, v7
	s_delay_alu instid0(VALU_DEP_2) | instskip(NEXT) | instid1(VALU_DEP_1)
	v_and_b32_e32 v3, 0x80, v13
	v_or_b32_e32 v5, 0x7e, v3
	v_cmpx_ne_u64_e32 0x7f800000, v[14:15]
	s_xor_b32 s14, exec_lo, s0
	s_cbranch_execz .LBB12_59
; %bb.46:                               ;   in Loop: Header=BB12_29 Depth=1
	v_dual_mov_b32 v14, v2 :: v_dual_and_b32 v13, 0x7fffffff, v7
	s_mov_b32 s0, exec_lo
	s_delay_alu instid0(VALU_DEP_1)
	v_cmpx_gt_u64_e32 0x43e00001, v[13:14]
	s_xor_b32 s15, exec_lo, s0
	s_cbranch_execz .LBB12_58
; %bb.47:                               ;   in Loop: Header=BB12_29 Depth=1
	v_mov_b32_e32 v5, 0
	s_mov_b32 s16, exec_lo
	v_cmpx_ne_u32_e32 0, v7
	s_cbranch_execz .LBB12_57
; %bb.48:                               ;   in Loop: Header=BB12_29 Depth=1
	v_bfe_u32 v5, v7, 23, 8
	s_delay_alu instid0(VALU_DEP_1) | instskip(SKIP_2) | instid1(VALU_DEP_3)
	v_sub_nc_u32_e64 v7, 0x79, v5 clamp
	v_cmp_eq_u32_e32 vcc_lo, 0, v5
	v_add_nc_u32_e32 v5, 0xffffff88, v5
	v_cndmask_b32_e64 v13, v7, 0x78, vcc_lo
	v_or_b32_e32 v7, 0x800000, v1
	s_delay_alu instid0(VALU_DEP_2) | instskip(NEXT) | instid1(VALU_DEP_2)
	v_add_nc_u32_e32 v8, 20, v13
	v_cndmask_b32_e32 v1, v7, v1, vcc_lo
	v_add_nc_u32_e32 v16, 19, v13
	s_delay_alu instid0(VALU_DEP_3) | instskip(NEXT) | instid1(VALU_DEP_3)
	v_lshlrev_b64 v[7:8], v8, -1
	v_lshrrev_b64 v[14:15], v13, v[1:2]
	s_delay_alu instid0(VALU_DEP_2) | instskip(NEXT) | instid1(VALU_DEP_3)
	v_not_b32_e32 v17, v8
	v_not_b32_e32 v18, v7
	v_lshlrev_b64 v[7:8], v16, 1
	s_delay_alu instid0(VALU_DEP_3) | instskip(NEXT) | instid1(VALU_DEP_3)
	v_and_b32_e32 v17, 0, v17
	v_and_b32_e32 v16, v1, v18
	;; [unrolled: 1-line block ×3, first 2 shown]
	s_delay_alu instid0(VALU_DEP_2) | instskip(NEXT) | instid1(VALU_DEP_2)
	v_cmp_eq_u64_e64 s0, v[16:17], v[7:8]
	v_cmp_eq_u64_e64 s1, 0, v[1:2]
	v_cndmask_b32_e64 v1, v5, 0xffffff89, vcc_lo
	v_lshrrev_b32_e32 v5, 23, v14
	s_delay_alu instid0(VALU_DEP_3) | instskip(NEXT) | instid1(VALU_DEP_1)
	s_and_b32 vcc_lo, s1, s0
	v_add3_u32 v5, v1, v13, v5
	v_subrev_co_ci_u32_e32 v7, vcc_lo, 0, v14, vcc_lo
	s_mov_b32 s0, exec_lo
	s_delay_alu instid0(VALU_DEP_2) | instskip(NEXT) | instid1(VALU_DEP_2)
	v_add_nc_u32_e32 v13, -1, v5
	v_and_b32_e32 v1, 0xfffff, v7
	s_delay_alu instid0(VALU_DEP_1) | instskip(SKIP_1) | instid1(VALU_DEP_4)
	v_add_co_u32 v7, vcc_lo, v1, v14
	v_add_co_ci_u32_e32 v8, vcc_lo, 0, v15, vcc_lo
                                        ; implicit-def: $vgpr1
	v_cmpx_ne_u32_e32 0, v13
	s_xor_b32 s0, exec_lo, s0
; %bb.49:                               ;   in Loop: Header=BB12_29 Depth=1
	s_delay_alu instid0(VALU_DEP_3) | instskip(SKIP_1) | instid1(VALU_DEP_2)
	v_and_b32_e32 v1, 0x1000000, v7
	v_bfe_u32 v14, v7, 24, 1
	v_cmp_eq_u64_e32 vcc_lo, 0, v[1:2]
	s_delay_alu instid0(VALU_DEP_2)
	v_lshrrev_b64 v[7:8], v14, v[7:8]
	v_cndmask_b32_e32 v1, v5, v13, vcc_lo
; %bb.50:                               ;   in Loop: Header=BB12_29 Depth=1
	s_and_not1_saveexec_b32 s0, s0
; %bb.51:                               ;   in Loop: Header=BB12_29 Depth=1
	s_delay_alu instid0(VALU_DEP_2)
	v_bfe_u32 v1, v7, 23, 1
; %bb.52:                               ;   in Loop: Header=BB12_29 Depth=1
	s_or_b32 exec_lo, exec_lo, s0
	s_delay_alu instid0(VALU_DEP_3) | instskip(NEXT) | instid1(VALU_DEP_2)
	v_lshrrev_b64 v[7:8], 20, v[7:8]
	v_cmp_gt_i32_e32 vcc_lo, 16, v1
	v_cmp_ne_u32_e64 s0, 0, v1
                                        ; implicit-def: $vgpr5
	s_delay_alu instid0(VALU_DEP_3) | instskip(NEXT) | instid1(VALU_DEP_1)
	v_dual_cndmask_b32 v8, 0, v8 :: v_dual_cndmask_b32 v7, 7, v7
	v_cmp_ne_u64_e32 vcc_lo, 0, v[7:8]
	s_delay_alu instid0(VALU_DEP_3) | instskip(NEXT) | instid1(SALU_CYCLE_1)
	s_or_b32 s0, s0, vcc_lo
	s_and_saveexec_b32 s1, s0
	s_delay_alu instid0(SALU_CYCLE_1)
	s_xor_b32 s0, exec_lo, s1
; %bb.53:                               ;   in Loop: Header=BB12_29 Depth=1
	v_min_i32_e32 v1, 15, v1
	s_delay_alu instid0(VALU_DEP_1) | instskip(NEXT) | instid1(VALU_DEP_1)
	v_lshl_or_b32 v1, v1, 3, v3
                                        ; implicit-def: $vgpr3
	v_and_or_b32 v5, v7, 7, v1
; %bb.54:                               ;   in Loop: Header=BB12_29 Depth=1
	s_and_not1_saveexec_b32 s0, s0
; %bb.55:                               ;   in Loop: Header=BB12_29 Depth=1
	v_mov_b32_e32 v5, v3
; %bb.56:                               ;   in Loop: Header=BB12_29 Depth=1
	s_or_b32 exec_lo, exec_lo, s0
.LBB12_57:                              ;   in Loop: Header=BB12_29 Depth=1
	s_delay_alu instid0(SALU_CYCLE_1)
	s_or_b32 exec_lo, exec_lo, s16
.LBB12_58:                              ;   in Loop: Header=BB12_29 Depth=1
	s_and_not1_saveexec_b32 s0, s15
	s_delay_alu instid0(SALU_CYCLE_1)
	s_or_b32 exec_lo, exec_lo, s0
                                        ; implicit-def: $vgpr13
.LBB12_59:                              ;   in Loop: Header=BB12_29 Depth=1
	s_and_not1_saveexec_b32 s0, s14
; %bb.60:                               ;   in Loop: Header=BB12_29 Depth=1
	v_cmp_eq_u64_e32 vcc_lo, 0, v[1:2]
	v_or_b32_e32 v3, 0x7f, v13
	s_delay_alu instid0(VALU_DEP_1)
	v_cndmask_b32_e32 v5, v3, v5, vcc_lo
; %bb.61:                               ;   in Loop: Header=BB12_29 Depth=1
	s_or_b32 exec_lo, exec_lo, s0
	v_fma_mixlo_f16 v1, v9, v4, 0 op_sel_hi:[0,1,0]
	v_dual_mov_b32 v15, v2 :: v_dual_add_nc_u32 v16, 1, v10
	s_mov_b32 s0, exec_lo
	s_delay_alu instid0(VALU_DEP_2) | instskip(SKIP_2) | instid1(VALU_DEP_1)
	v_mul_f16_e32 v1, v6, v1
	global_store_b8 v16, v5, s[2:3]
	v_cvt_f32_f16_e32 v1, v1
	v_mul_f32_e32 v1, v11, v1
	s_delay_alu instid0(VALU_DEP_1) | instskip(NEXT) | instid1(VALU_DEP_1)
	v_minmax_f32 v7, v1, s13, 0xc3e00000
	v_and_b32_e32 v14, 0x7f800000, v7
	v_lshrrev_b32_e32 v13, 24, v7
	v_and_b32_e32 v1, 0x7fffff, v7
	s_delay_alu instid0(VALU_DEP_2) | instskip(NEXT) | instid1(VALU_DEP_1)
	v_and_b32_e32 v3, 0x80, v13
	v_or_b32_e32 v8, 0x7e, v3
	v_cmpx_ne_u64_e32 0x7f800000, v[14:15]
	s_xor_b32 s14, exec_lo, s0
	s_cbranch_execz .LBB12_75
; %bb.62:                               ;   in Loop: Header=BB12_29 Depth=1
	v_dual_mov_b32 v14, v2 :: v_dual_and_b32 v13, 0x7fffffff, v7
	s_mov_b32 s0, exec_lo
	s_delay_alu instid0(VALU_DEP_1)
	v_cmpx_gt_u64_e32 0x43e00001, v[13:14]
	s_xor_b32 s15, exec_lo, s0
	s_cbranch_execz .LBB12_74
; %bb.63:                               ;   in Loop: Header=BB12_29 Depth=1
	v_mov_b32_e32 v8, 0
	s_mov_b32 s16, exec_lo
	v_cmpx_ne_u32_e32 0, v7
	s_cbranch_execz .LBB12_73
; %bb.64:                               ;   in Loop: Header=BB12_29 Depth=1
	v_bfe_u32 v5, v7, 23, 8
	s_delay_alu instid0(VALU_DEP_1) | instskip(SKIP_2) | instid1(VALU_DEP_3)
	v_sub_nc_u32_e64 v7, 0x79, v5 clamp
	v_cmp_eq_u32_e32 vcc_lo, 0, v5
	v_add_nc_u32_e32 v5, 0xffffff88, v5
	v_cndmask_b32_e64 v13, v7, 0x78, vcc_lo
	v_or_b32_e32 v7, 0x800000, v1
	s_delay_alu instid0(VALU_DEP_2) | instskip(NEXT) | instid1(VALU_DEP_2)
	v_add_nc_u32_e32 v8, 20, v13
	v_cndmask_b32_e32 v1, v7, v1, vcc_lo
	v_add_nc_u32_e32 v16, 19, v13
	s_delay_alu instid0(VALU_DEP_3) | instskip(NEXT) | instid1(VALU_DEP_3)
	v_lshlrev_b64 v[7:8], v8, -1
	v_lshrrev_b64 v[14:15], v13, v[1:2]
	s_delay_alu instid0(VALU_DEP_2) | instskip(NEXT) | instid1(VALU_DEP_3)
	v_not_b32_e32 v17, v8
	v_not_b32_e32 v18, v7
	v_lshlrev_b64 v[7:8], v16, 1
	s_delay_alu instid0(VALU_DEP_3) | instskip(NEXT) | instid1(VALU_DEP_3)
	v_and_b32_e32 v17, 0, v17
	v_and_b32_e32 v16, v1, v18
	;; [unrolled: 1-line block ×3, first 2 shown]
	s_delay_alu instid0(VALU_DEP_2) | instskip(NEXT) | instid1(VALU_DEP_2)
	v_cmp_eq_u64_e64 s0, v[16:17], v[7:8]
	v_cmp_eq_u64_e64 s1, 0, v[1:2]
	v_cndmask_b32_e64 v1, v5, 0xffffff89, vcc_lo
	v_lshrrev_b32_e32 v5, 23, v14
	s_delay_alu instid0(VALU_DEP_3) | instskip(NEXT) | instid1(VALU_DEP_1)
	s_and_b32 vcc_lo, s1, s0
	v_add3_u32 v5, v1, v13, v5
	v_subrev_co_ci_u32_e32 v7, vcc_lo, 0, v14, vcc_lo
	s_mov_b32 s0, exec_lo
	s_delay_alu instid0(VALU_DEP_2) | instskip(NEXT) | instid1(VALU_DEP_2)
	v_add_nc_u32_e32 v13, -1, v5
	v_and_b32_e32 v1, 0xfffff, v7
	s_delay_alu instid0(VALU_DEP_1) | instskip(SKIP_1) | instid1(VALU_DEP_4)
	v_add_co_u32 v7, vcc_lo, v1, v14
	v_add_co_ci_u32_e32 v8, vcc_lo, 0, v15, vcc_lo
                                        ; implicit-def: $vgpr1
	v_cmpx_ne_u32_e32 0, v13
	s_xor_b32 s0, exec_lo, s0
; %bb.65:                               ;   in Loop: Header=BB12_29 Depth=1
	s_delay_alu instid0(VALU_DEP_3) | instskip(SKIP_1) | instid1(VALU_DEP_2)
	v_and_b32_e32 v1, 0x1000000, v7
	v_bfe_u32 v14, v7, 24, 1
	v_cmp_eq_u64_e32 vcc_lo, 0, v[1:2]
	s_delay_alu instid0(VALU_DEP_2)
	v_lshrrev_b64 v[7:8], v14, v[7:8]
	v_cndmask_b32_e32 v1, v5, v13, vcc_lo
; %bb.66:                               ;   in Loop: Header=BB12_29 Depth=1
	s_and_not1_saveexec_b32 s0, s0
; %bb.67:                               ;   in Loop: Header=BB12_29 Depth=1
	s_delay_alu instid0(VALU_DEP_2)
	v_bfe_u32 v1, v7, 23, 1
; %bb.68:                               ;   in Loop: Header=BB12_29 Depth=1
	s_or_b32 exec_lo, exec_lo, s0
	s_delay_alu instid0(VALU_DEP_3) | instskip(NEXT) | instid1(VALU_DEP_2)
	v_lshrrev_b64 v[7:8], 20, v[7:8]
	v_cmp_gt_i32_e32 vcc_lo, 16, v1
	v_cmp_ne_u32_e64 s0, 0, v1
	s_delay_alu instid0(VALU_DEP_3) | instskip(NEXT) | instid1(VALU_DEP_1)
	v_dual_cndmask_b32 v8, 0, v8 :: v_dual_cndmask_b32 v7, 7, v7
	v_cmp_ne_u64_e32 vcc_lo, 0, v[7:8]
                                        ; implicit-def: $vgpr8
	s_delay_alu instid0(VALU_DEP_3) | instskip(NEXT) | instid1(SALU_CYCLE_1)
	s_or_b32 s0, s0, vcc_lo
	s_and_saveexec_b32 s1, s0
	s_delay_alu instid0(SALU_CYCLE_1)
	s_xor_b32 s0, exec_lo, s1
; %bb.69:                               ;   in Loop: Header=BB12_29 Depth=1
	v_min_i32_e32 v1, 15, v1
	s_delay_alu instid0(VALU_DEP_1) | instskip(NEXT) | instid1(VALU_DEP_1)
	v_lshl_or_b32 v1, v1, 3, v3
                                        ; implicit-def: $vgpr3
	v_and_or_b32 v8, v7, 7, v1
; %bb.70:                               ;   in Loop: Header=BB12_29 Depth=1
	s_and_not1_saveexec_b32 s0, s0
; %bb.71:                               ;   in Loop: Header=BB12_29 Depth=1
	v_mov_b32_e32 v8, v3
; %bb.72:                               ;   in Loop: Header=BB12_29 Depth=1
	s_or_b32 exec_lo, exec_lo, s0
.LBB12_73:                              ;   in Loop: Header=BB12_29 Depth=1
	s_delay_alu instid0(SALU_CYCLE_1)
	s_or_b32 exec_lo, exec_lo, s16
.LBB12_74:                              ;   in Loop: Header=BB12_29 Depth=1
	s_and_not1_saveexec_b32 s0, s15
	s_delay_alu instid0(SALU_CYCLE_1)
	s_or_b32 exec_lo, exec_lo, s0
                                        ; implicit-def: $vgpr13
.LBB12_75:                              ;   in Loop: Header=BB12_29 Depth=1
	s_and_not1_saveexec_b32 s0, s14
; %bb.76:                               ;   in Loop: Header=BB12_29 Depth=1
	v_cmp_eq_u64_e32 vcc_lo, 0, v[1:2]
	v_or_b32_e32 v3, 0x7f, v13
	s_delay_alu instid0(VALU_DEP_1)
	v_cndmask_b32_e32 v8, v3, v8, vcc_lo
; %bb.77:                               ;   in Loop: Header=BB12_29 Depth=1
	s_or_b32 exec_lo, exec_lo, s0
	v_lshrrev_b32_e32 v1, 16, v6
	v_fma_mixlo_f16 v3, v9, v4, 0 op_sel:[0,1,0] op_sel_hi:[0,1,0]
	v_add_nc_u32_e32 v7, 2, v10
	s_mov_b32 s0, exec_lo
	v_mov_b32_e32 v14, v2
	s_delay_alu instid0(VALU_DEP_3) | instskip(SKIP_2) | instid1(VALU_DEP_1)
	v_mul_f16_e32 v1, v1, v3
	global_store_b8 v7, v8, s[2:3]
	v_cvt_f32_f16_e32 v1, v1
	v_mul_f32_e32 v1, v11, v1
	s_delay_alu instid0(VALU_DEP_1) | instskip(NEXT) | instid1(VALU_DEP_1)
	v_minmax_f32 v3, v1, s13, 0xc3e00000
	v_lshrrev_b32_e32 v6, 24, v3
	v_and_b32_e32 v13, 0x7f800000, v3
	v_and_b32_e32 v1, 0x7fffff, v3
	s_delay_alu instid0(VALU_DEP_3) | instskip(NEXT) | instid1(VALU_DEP_1)
	v_and_b32_e32 v5, 0x80, v6
	v_or_b32_e32 v4, 0x7e, v5
	s_delay_alu instid0(VALU_DEP_4)
	v_cmpx_ne_u64_e32 0x7f800000, v[13:14]
	s_xor_b32 s14, exec_lo, s0
	s_cbranch_execz .LBB12_91
; %bb.78:                               ;   in Loop: Header=BB12_29 Depth=1
	v_dual_mov_b32 v7, v2 :: v_dual_and_b32 v6, 0x7fffffff, v3
	s_mov_b32 s0, exec_lo
	s_delay_alu instid0(VALU_DEP_1)
	v_cmpx_gt_u64_e32 0x43e00001, v[6:7]
	s_xor_b32 s15, exec_lo, s0
	s_cbranch_execz .LBB12_90
; %bb.79:                               ;   in Loop: Header=BB12_29 Depth=1
	v_mov_b32_e32 v4, 0
	s_mov_b32 s16, exec_lo
	v_cmpx_ne_u32_e32 0, v3
	s_cbranch_execz .LBB12_89
; %bb.80:                               ;   in Loop: Header=BB12_29 Depth=1
	v_bfe_u32 v8, v3, 23, 8
	s_delay_alu instid0(VALU_DEP_1) | instskip(SKIP_2) | instid1(VALU_DEP_3)
	v_sub_nc_u32_e64 v3, 0x79, v8 clamp
	v_cmp_eq_u32_e32 vcc_lo, 0, v8
	v_add_nc_u32_e32 v8, 0xffffff88, v8
	v_cndmask_b32_e64 v15, v3, 0x78, vcc_lo
	v_or_b32_e32 v3, 0x800000, v1
	s_delay_alu instid0(VALU_DEP_1) | instskip(SKIP_1) | instid1(VALU_DEP_2)
	v_dual_cndmask_b32 v1, v3, v1 :: v_dual_add_nc_u32 v4, 20, v15
	v_add_nc_u32_e32 v6, 19, v15
	v_lshlrev_b64 v[3:4], v4, -1
	s_delay_alu instid0(VALU_DEP_3) | instskip(NEXT) | instid1(VALU_DEP_2)
	v_lshrrev_b64 v[13:14], v15, v[1:2]
	v_not_b32_e32 v7, v4
	s_delay_alu instid0(VALU_DEP_3) | instskip(SKIP_1) | instid1(VALU_DEP_3)
	v_not_b32_e32 v16, v3
	v_lshlrev_b64 v[3:4], v6, 1
	v_and_b32_e32 v7, 0, v7
	s_delay_alu instid0(VALU_DEP_3) | instskip(SKIP_1) | instid1(VALU_DEP_2)
	v_and_b32_e32 v6, v1, v16
	v_and_b32_e32 v1, 0x100000, v13
	v_cmp_eq_u64_e64 s0, v[6:7], v[3:4]
	s_delay_alu instid0(VALU_DEP_2) | instskip(SKIP_2) | instid1(VALU_DEP_3)
	v_cmp_eq_u64_e64 s1, 0, v[1:2]
	v_cndmask_b32_e64 v1, v8, 0xffffff89, vcc_lo
	v_lshrrev_b32_e32 v3, 23, v13
	s_and_b32 vcc_lo, s1, s0
	s_delay_alu instid0(VALU_DEP_1) | instskip(SKIP_2) | instid1(VALU_DEP_2)
	v_add3_u32 v6, v1, v15, v3
	v_subrev_co_ci_u32_e32 v4, vcc_lo, 0, v13, vcc_lo
	s_mov_b32 s0, exec_lo
	v_add_nc_u32_e32 v7, -1, v6
	s_delay_alu instid0(VALU_DEP_2) | instskip(NEXT) | instid1(VALU_DEP_1)
	v_and_b32_e32 v1, 0xfffff, v4
	v_add_co_u32 v3, vcc_lo, v1, v13
	v_add_co_ci_u32_e32 v4, vcc_lo, 0, v14, vcc_lo
                                        ; implicit-def: $vgpr1
	s_delay_alu instid0(VALU_DEP_4)
	v_cmpx_ne_u32_e32 0, v7
	s_xor_b32 s0, exec_lo, s0
; %bb.81:                               ;   in Loop: Header=BB12_29 Depth=1
	s_delay_alu instid0(VALU_DEP_3) | instskip(SKIP_1) | instid1(VALU_DEP_2)
	v_and_b32_e32 v1, 0x1000000, v3
	v_bfe_u32 v8, v3, 24, 1
	v_cmp_eq_u64_e32 vcc_lo, 0, v[1:2]
	s_delay_alu instid0(VALU_DEP_2)
	v_lshrrev_b64 v[3:4], v8, v[3:4]
	v_cndmask_b32_e32 v1, v6, v7, vcc_lo
; %bb.82:                               ;   in Loop: Header=BB12_29 Depth=1
	s_and_not1_saveexec_b32 s0, s0
; %bb.83:                               ;   in Loop: Header=BB12_29 Depth=1
	s_delay_alu instid0(VALU_DEP_2)
	v_bfe_u32 v1, v3, 23, 1
; %bb.84:                               ;   in Loop: Header=BB12_29 Depth=1
	s_or_b32 exec_lo, exec_lo, s0
	s_delay_alu instid0(VALU_DEP_3) | instskip(NEXT) | instid1(VALU_DEP_2)
	v_lshrrev_b64 v[3:4], 20, v[3:4]
	v_cmp_gt_i32_e32 vcc_lo, 16, v1
	v_cmp_ne_u32_e64 s0, 0, v1
	s_delay_alu instid0(VALU_DEP_3) | instskip(NEXT) | instid1(VALU_DEP_1)
	v_dual_cndmask_b32 v4, 0, v4 :: v_dual_cndmask_b32 v3, 7, v3
	v_cmp_ne_u64_e32 vcc_lo, 0, v[3:4]
                                        ; implicit-def: $vgpr4
	s_delay_alu instid0(VALU_DEP_3) | instskip(NEXT) | instid1(SALU_CYCLE_1)
	s_or_b32 s0, s0, vcc_lo
	s_and_saveexec_b32 s1, s0
	s_delay_alu instid0(SALU_CYCLE_1)
	s_xor_b32 s0, exec_lo, s1
; %bb.85:                               ;   in Loop: Header=BB12_29 Depth=1
	v_min_i32_e32 v1, 15, v1
	s_delay_alu instid0(VALU_DEP_1) | instskip(NEXT) | instid1(VALU_DEP_1)
	v_lshl_or_b32 v1, v1, 3, v5
                                        ; implicit-def: $vgpr5
	v_and_or_b32 v4, v3, 7, v1
; %bb.86:                               ;   in Loop: Header=BB12_29 Depth=1
	s_and_not1_saveexec_b32 s0, s0
; %bb.87:                               ;   in Loop: Header=BB12_29 Depth=1
	v_mov_b32_e32 v4, v5
; %bb.88:                               ;   in Loop: Header=BB12_29 Depth=1
	s_or_b32 exec_lo, exec_lo, s0
.LBB12_89:                              ;   in Loop: Header=BB12_29 Depth=1
	s_delay_alu instid0(SALU_CYCLE_1)
	s_or_b32 exec_lo, exec_lo, s16
.LBB12_90:                              ;   in Loop: Header=BB12_29 Depth=1
	s_and_not1_saveexec_b32 s0, s15
	s_delay_alu instid0(SALU_CYCLE_1)
	s_or_b32 exec_lo, exec_lo, s0
                                        ; implicit-def: $vgpr6
.LBB12_91:                              ;   in Loop: Header=BB12_29 Depth=1
	s_and_not1_saveexec_b32 s0, s14
	s_cbranch_execz .LBB12_28
; %bb.92:                               ;   in Loop: Header=BB12_29 Depth=1
	v_cmp_eq_u64_e32 vcc_lo, 0, v[1:2]
	v_or_b32_e32 v3, 0x7f, v6
	s_delay_alu instid0(VALU_DEP_1)
	v_cndmask_b32_e32 v4, v3, v4, vcc_lo
	s_branch .LBB12_28
.LBB12_93:
	s_nop 0
	s_sendmsg sendmsg(MSG_DEALLOC_VGPRS)
	s_endpgm
	.section	.rodata,"a",@progbits
	.p2align	6, 0x0
	.amdhsa_kernel _ZN4vllm32rms_norm_static_fp8_quant_kernelIN3c104HalfENS1_13Float8_e4m3fnELi4EEEvPT0_PKT_iS8_PKffii
		.amdhsa_group_segment_fixed_size 132
		.amdhsa_private_segment_fixed_size 0
		.amdhsa_kernarg_size 312
		.amdhsa_user_sgpr_count 15
		.amdhsa_user_sgpr_dispatch_ptr 0
		.amdhsa_user_sgpr_queue_ptr 0
		.amdhsa_user_sgpr_kernarg_segment_ptr 1
		.amdhsa_user_sgpr_dispatch_id 0
		.amdhsa_user_sgpr_private_segment_size 0
		.amdhsa_wavefront_size32 1
		.amdhsa_uses_dynamic_stack 0
		.amdhsa_enable_private_segment 0
		.amdhsa_system_sgpr_workgroup_id_x 1
		.amdhsa_system_sgpr_workgroup_id_y 0
		.amdhsa_system_sgpr_workgroup_id_z 0
		.amdhsa_system_sgpr_workgroup_info 0
		.amdhsa_system_vgpr_workitem_id 0
		.amdhsa_next_free_vgpr 21
		.amdhsa_next_free_sgpr 20
		.amdhsa_reserve_vcc 1
		.amdhsa_float_round_mode_32 0
		.amdhsa_float_round_mode_16_64 0
		.amdhsa_float_denorm_mode_32 3
		.amdhsa_float_denorm_mode_16_64 3
		.amdhsa_dx10_clamp 1
		.amdhsa_ieee_mode 1
		.amdhsa_fp16_overflow 0
		.amdhsa_workgroup_processor_mode 1
		.amdhsa_memory_ordered 1
		.amdhsa_forward_progress 0
		.amdhsa_shared_vgpr_count 0
		.amdhsa_exception_fp_ieee_invalid_op 0
		.amdhsa_exception_fp_denorm_src 0
		.amdhsa_exception_fp_ieee_div_zero 0
		.amdhsa_exception_fp_ieee_overflow 0
		.amdhsa_exception_fp_ieee_underflow 0
		.amdhsa_exception_fp_ieee_inexact 0
		.amdhsa_exception_int_div_zero 0
	.end_amdhsa_kernel
	.section	.text._ZN4vllm32rms_norm_static_fp8_quant_kernelIN3c104HalfENS1_13Float8_e4m3fnELi4EEEvPT0_PKT_iS8_PKffii,"axG",@progbits,_ZN4vllm32rms_norm_static_fp8_quant_kernelIN3c104HalfENS1_13Float8_e4m3fnELi4EEEvPT0_PKT_iS8_PKffii,comdat
.Lfunc_end12:
	.size	_ZN4vllm32rms_norm_static_fp8_quant_kernelIN3c104HalfENS1_13Float8_e4m3fnELi4EEEvPT0_PKT_iS8_PKffii, .Lfunc_end12-_ZN4vllm32rms_norm_static_fp8_quant_kernelIN3c104HalfENS1_13Float8_e4m3fnELi4EEEvPT0_PKT_iS8_PKffii
                                        ; -- End function
	.section	.AMDGPU.csdata,"",@progbits
; Kernel info:
; codeLenInByte = 4372
; NumSgprs: 22
; NumVgprs: 21
; ScratchSize: 0
; MemoryBound: 0
; FloatMode: 240
; IeeeMode: 1
; LDSByteSize: 132 bytes/workgroup (compile time only)
; SGPRBlocks: 2
; VGPRBlocks: 2
; NumSGPRsForWavesPerEU: 22
; NumVGPRsForWavesPerEU: 21
; Occupancy: 16
; WaveLimiterHint : 0
; COMPUTE_PGM_RSRC2:SCRATCH_EN: 0
; COMPUTE_PGM_RSRC2:USER_SGPR: 15
; COMPUTE_PGM_RSRC2:TRAP_HANDLER: 0
; COMPUTE_PGM_RSRC2:TGID_X_EN: 1
; COMPUTE_PGM_RSRC2:TGID_Y_EN: 0
; COMPUTE_PGM_RSRC2:TGID_Z_EN: 0
; COMPUTE_PGM_RSRC2:TIDIG_COMP_CNT: 0
	.section	.text._ZN4vllm32rms_norm_static_fp8_quant_kernelIN3c104HalfENS1_13Float8_e4m3fnELi2EEEvPT0_PKT_iS8_PKffii,"axG",@progbits,_ZN4vllm32rms_norm_static_fp8_quant_kernelIN3c104HalfENS1_13Float8_e4m3fnELi2EEEvPT0_PKT_iS8_PKffii,comdat
	.protected	_ZN4vllm32rms_norm_static_fp8_quant_kernelIN3c104HalfENS1_13Float8_e4m3fnELi2EEEvPT0_PKT_iS8_PKffii ; -- Begin function _ZN4vllm32rms_norm_static_fp8_quant_kernelIN3c104HalfENS1_13Float8_e4m3fnELi2EEEvPT0_PKT_iS8_PKffii
	.globl	_ZN4vllm32rms_norm_static_fp8_quant_kernelIN3c104HalfENS1_13Float8_e4m3fnELi2EEEvPT0_PKT_iS8_PKffii
	.p2align	8
	.type	_ZN4vllm32rms_norm_static_fp8_quant_kernelIN3c104HalfENS1_13Float8_e4m3fnELi2EEEvPT0_PKT_iS8_PKffii,@function
_ZN4vllm32rms_norm_static_fp8_quant_kernelIN3c104HalfENS1_13Float8_e4m3fnELi2EEEvPT0_PKT_iS8_PKffii: ; @_ZN4vllm32rms_norm_static_fp8_quant_kernelIN3c104HalfENS1_13Float8_e4m3fnELi2EEEvPT0_PKT_iS8_PKffii
; %bb.0:
	s_clause 0x3
	s_load_b32 s2, s[0:1], 0x10
	s_load_b64 s[4:5], s[0:1], 0x8
	s_load_b32 s10, s[0:1], 0x44
	s_load_b32 s13, s[0:1], 0x30
	s_mov_b32 s3, 0
	s_waitcnt lgkmcnt(0)
	s_mul_i32 s2, s15, s2
	s_delay_alu instid0(SALU_CYCLE_1) | instskip(NEXT) | instid1(SALU_CYCLE_1)
	s_lshl_b64 s[6:7], s[2:3], 1
	s_add_u32 s8, s4, s6
	s_addc_u32 s9, s5, s7
	s_and_b32 s2, s8, 3
	s_and_b32 s12, s10, 0xffff
	s_cmp_lg_u64 s[2:3], 0
	s_cselect_b32 s2, -1, 0
	s_bitcmp1_b32 s13, 0
	s_cselect_b32 s3, -1, 0
	s_delay_alu instid0(SALU_CYCLE_1) | instskip(NEXT) | instid1(SALU_CYCLE_1)
	s_or_b32 s2, s2, s3
	s_and_b32 vcc_lo, exec_lo, s2
	s_cbranch_vccz .LBB13_13
; %bb.1:
	s_sub_i32 s2, 0, s8
	v_mov_b32_e32 v4, 0
	s_bfe_u32 s2, s2, 0x10001
	s_mov_b32 s11, exec_lo
	s_min_i32 s10, s2, s13
	s_delay_alu instid0(SALU_CYCLE_1)
	v_cmpx_gt_i32_e64 s10, v0
	s_cbranch_execz .LBB13_4
; %bb.2:
	v_dual_mov_b32 v1, 0 :: v_dual_mov_b32 v4, 0
	s_lshl_b32 s14, s12, 1
	s_mov_b32 s16, 0
	s_mov_b64 s[2:3], s[8:9]
.LBB13_3:                               ; =>This Inner Loop Header: Depth=1
	global_load_u16 v2, v1, s[2:3]
	s_add_i32 s16, s16, s12
	s_add_u32 s2, s2, s14
	s_addc_u32 s3, s3, 0
	s_cmp_ge_i32 s16, s10
	s_waitcnt vmcnt(0)
	v_fma_mix_f32 v4, v2, v2, v4 op_sel_hi:[1,1,0]
	s_cbranch_scc0 .LBB13_3
.LBB13_4:
	s_or_b32 exec_lo, exec_lo, s11
	s_sub_i32 s3, s13, s10
	s_ashr_i32 s11, s10, 31
	s_lshr_b32 s2, s3, 31
	s_mov_b32 s16, exec_lo
	s_add_i32 s2, s3, s2
	s_delay_alu instid0(SALU_CYCLE_1) | instskip(NEXT) | instid1(SALU_CYCLE_1)
	s_ashr_i32 s14, s2, 1
	v_cmpx_gt_i32_e64 s14, v0
	s_cbranch_execz .LBB13_8
; %bb.5:
	v_lshlrev_b32_e32 v1, 2, v0
	s_lshl_b64 s[18:19], s[10:11], 1
	s_add_u32 s2, s4, s6
	s_addc_u32 s17, s5, s7
	s_add_u32 s2, s2, s18
	s_addc_u32 s17, s17, s19
	v_add_co_u32 v1, s2, s2, v1
	s_delay_alu instid0(VALU_DEP_1) | instskip(SKIP_1) | instid1(VALU_DEP_3)
	v_add_co_ci_u32_e64 v2, null, s17, 0, s2
	v_mov_b32_e32 v3, v0
	v_add_co_u32 v1, vcc_lo, v1, 2
	s_delay_alu instid0(VALU_DEP_3)
	v_add_co_ci_u32_e32 v2, vcc_lo, 0, v2, vcc_lo
	s_mov_b32 s17, 0
	s_lshl_b32 s18, s12, 2
.LBB13_6:                               ; =>This Inner Loop Header: Depth=1
	global_load_b32 v5, v[1:2], off offset:-2
	v_add_nc_u32_e32 v3, s12, v3
	v_add_co_u32 v1, vcc_lo, v1, s18
	v_add_co_ci_u32_e32 v2, vcc_lo, 0, v2, vcc_lo
	s_delay_alu instid0(VALU_DEP_3) | instskip(NEXT) | instid1(VALU_DEP_1)
	v_cmp_le_i32_e64 s2, s14, v3
	s_or_b32 s17, s2, s17
	s_waitcnt vmcnt(0)
	v_fma_mix_f32 v4, v5, v5, v4 op_sel_hi:[1,1,0]
	s_delay_alu instid0(VALU_DEP_1)
	v_fma_mix_f32 v4, v5, v5, v4 op_sel:[1,1,0] op_sel_hi:[1,1,0]
	s_and_not1_b32 exec_lo, exec_lo, s17
	s_cbranch_execnz .LBB13_6
; %bb.7:
	s_or_b32 exec_lo, exec_lo, s17
.LBB13_8:
	s_delay_alu instid0(SALU_CYCLE_1) | instskip(SKIP_2) | instid1(VALU_DEP_1)
	s_or_b32 exec_lo, exec_lo, s16
	v_lshl_add_u32 v1, s14, 1, v0
	s_mov_b32 s14, exec_lo
	v_cmpx_gt_i32_e64 s3, v1
	s_cbranch_execz .LBB13_12
; %bb.9:
	v_ashrrev_i32_e32 v2, 31, v1
	s_lshl_b64 s[10:11], s[10:11], 1
	s_add_u32 s2, s4, s6
	s_addc_u32 s16, s5, s7
	s_add_u32 s2, s2, s10
	v_lshlrev_b64 v[2:3], 1, v[1:2]
	s_addc_u32 s10, s16, s11
	s_lshl_b32 s11, s12, 1
	s_delay_alu instid0(VALU_DEP_1) | instskip(NEXT) | instid1(VALU_DEP_2)
	v_add_co_u32 v2, vcc_lo, s2, v2
	v_add_co_ci_u32_e32 v3, vcc_lo, s10, v3, vcc_lo
	s_mov_b32 s10, 0
.LBB13_10:                              ; =>This Inner Loop Header: Depth=1
	global_load_u16 v5, v[2:3], off
	v_add_nc_u32_e32 v1, s12, v1
	v_add_co_u32 v2, vcc_lo, v2, s11
	v_add_co_ci_u32_e32 v3, vcc_lo, 0, v3, vcc_lo
	s_delay_alu instid0(VALU_DEP_3) | instskip(NEXT) | instid1(VALU_DEP_1)
	v_cmp_le_i32_e64 s2, s3, v1
	s_or_b32 s10, s2, s10
	s_waitcnt vmcnt(0)
	v_fma_mix_f32 v4, v5, v5, v4 op_sel_hi:[1,1,0]
	s_and_not1_b32 exec_lo, exec_lo, s10
	s_cbranch_execnz .LBB13_10
; %bb.11:
	s_or_b32 exec_lo, exec_lo, s10
.LBB13_12:
	s_delay_alu instid0(SALU_CYCLE_1)
	s_or_b32 exec_lo, exec_lo, s14
	s_branch .LBB13_19
.LBB13_13:
                                        ; implicit-def: $vgpr4
	s_cbranch_execz .LBB13_19
; %bb.14:
	v_mov_b32_e32 v4, 0
	s_ashr_i32 s10, s13, 1
	s_mov_b32 s3, exec_lo
	v_cmpx_gt_i32_e64 s10, v0
	s_cbranch_execz .LBB13_18
; %bb.15:
	v_dual_mov_b32 v4, 0 :: v_dual_lshlrev_b32 v1, 2, v0
	s_add_u32 s2, s4, s6
	s_addc_u32 s4, s5, s7
	v_mov_b32_e32 v3, v0
	s_delay_alu instid0(VALU_DEP_2) | instskip(NEXT) | instid1(VALU_DEP_1)
	v_add_co_u32 v1, s2, s2, v1
	v_add_co_ci_u32_e64 v2, null, s4, 0, s2
	s_mov_b32 s4, 0
	s_delay_alu instid0(VALU_DEP_2) | instskip(NEXT) | instid1(VALU_DEP_2)
	v_add_co_u32 v1, vcc_lo, v1, 2
	v_add_co_ci_u32_e32 v2, vcc_lo, 0, v2, vcc_lo
	s_lshl_b32 s5, s12, 2
.LBB13_16:                              ; =>This Inner Loop Header: Depth=1
	global_load_b32 v5, v[1:2], off offset:-2
	v_add_nc_u32_e32 v3, s12, v3
	v_add_co_u32 v1, vcc_lo, v1, s5
	v_add_co_ci_u32_e32 v2, vcc_lo, 0, v2, vcc_lo
	s_delay_alu instid0(VALU_DEP_3) | instskip(NEXT) | instid1(VALU_DEP_1)
	v_cmp_le_i32_e64 s2, s10, v3
	s_or_b32 s4, s2, s4
	s_waitcnt vmcnt(0)
	v_fma_mix_f32 v4, v5, v5, v4 op_sel_hi:[1,1,0]
	s_delay_alu instid0(VALU_DEP_1)
	v_fma_mix_f32 v4, v5, v5, v4 op_sel:[1,1,0] op_sel_hi:[1,1,0]
	s_and_not1_b32 exec_lo, exec_lo, s4
	s_cbranch_execnz .LBB13_16
; %bb.17:
	s_or_b32 exec_lo, exec_lo, s4
.LBB13_18:
	s_delay_alu instid0(SALU_CYCLE_1)
	s_or_b32 exec_lo, exec_lo, s3
.LBB13_19:
	v_mbcnt_lo_u32_b32 v1, -1, 0
	v_and_b32_e32 v3, 0x3e0, v0
	s_mov_b32 s2, exec_lo
	s_delay_alu instid0(VALU_DEP_2) | instskip(NEXT) | instid1(VALU_DEP_2)
	v_cmp_ne_u32_e32 vcc_lo, 31, v1
	v_sub_nc_u32_e64 v12, s12, v3 clamp
	v_add_nc_u32_e32 v3, 1, v1
	v_add_co_ci_u32_e32 v2, vcc_lo, 0, v1, vcc_lo
	v_cmp_gt_u32_e32 vcc_lo, 30, v1
	s_delay_alu instid0(VALU_DEP_2)
	v_lshlrev_b32_e32 v2, 2, v2
	v_cndmask_b32_e64 v6, 0, 1, vcc_lo
	v_cmp_lt_u32_e32 vcc_lo, v3, v12
	ds_bpermute_b32 v5, v2, v4
	s_waitcnt lgkmcnt(0)
	v_dual_add_f32 v7, v4, v5 :: v_dual_lshlrev_b32 v6, 1, v6
	s_delay_alu instid0(VALU_DEP_1) | instskip(NEXT) | instid1(VALU_DEP_2)
	v_cndmask_b32_e32 v7, v4, v7, vcc_lo
	v_add_lshl_u32 v5, v6, v1, 2
	v_cmp_gt_u32_e32 vcc_lo, 28, v1
	ds_bpermute_b32 v6, v5, v7
	v_cndmask_b32_e64 v4, 0, 1, vcc_lo
	s_delay_alu instid0(VALU_DEP_1) | instskip(SKIP_1) | instid1(VALU_DEP_1)
	v_lshlrev_b32_e32 v8, 2, v4
	v_add_nc_u32_e32 v4, 2, v1
	v_cmp_lt_u32_e32 vcc_lo, v4, v12
	s_waitcnt lgkmcnt(0)
	v_add_f32_e32 v9, v7, v6
	v_add_lshl_u32 v6, v8, v1, 2
	s_delay_alu instid0(VALU_DEP_2) | instskip(SKIP_2) | instid1(VALU_DEP_1)
	v_cndmask_b32_e32 v9, v7, v9, vcc_lo
	v_cmp_gt_u32_e32 vcc_lo, 24, v1
	v_cndmask_b32_e64 v7, 0, 1, vcc_lo
	v_lshlrev_b32_e32 v10, 3, v7
	ds_bpermute_b32 v8, v6, v9
	v_add_nc_u32_e32 v7, 4, v1
	s_delay_alu instid0(VALU_DEP_1) | instskip(SKIP_3) | instid1(VALU_DEP_2)
	v_cmp_lt_u32_e32 vcc_lo, v7, v12
	s_waitcnt lgkmcnt(0)
	v_add_f32_e32 v11, v9, v8
	v_add_lshl_u32 v8, v10, v1, 2
	v_cndmask_b32_e32 v11, v9, v11, vcc_lo
	v_cmp_gt_u32_e32 vcc_lo, 16, v1
	ds_bpermute_b32 v10, v8, v11
	v_cndmask_b32_e64 v9, 0, 1, vcc_lo
	s_delay_alu instid0(VALU_DEP_1) | instskip(SKIP_1) | instid1(VALU_DEP_1)
	v_lshlrev_b32_e32 v13, 4, v9
	v_add_nc_u32_e32 v9, 8, v1
	v_cmp_lt_u32_e32 vcc_lo, v9, v12
	s_waitcnt lgkmcnt(0)
	v_add_f32_e32 v14, v11, v10
	v_add_lshl_u32 v10, v13, v1, 2
	s_delay_alu instid0(VALU_DEP_2)
	v_cndmask_b32_e32 v13, v11, v14, vcc_lo
	v_add_nc_u32_e32 v11, 16, v1
	ds_bpermute_b32 v14, v10, v13
	v_cmp_lt_u32_e32 vcc_lo, v11, v12
	s_waitcnt lgkmcnt(0)
	v_add_f32_e32 v14, v13, v14
	s_delay_alu instid0(VALU_DEP_1)
	v_cndmask_b32_e32 v12, v13, v14, vcc_lo
	v_cmpx_eq_u32_e32 0, v1
	s_cbranch_execz .LBB13_21
; %bb.20:
	v_lshrrev_b32_e32 v13, 3, v0
	s_delay_alu instid0(VALU_DEP_1)
	v_and_b32_e32 v13, 0x7c, v13
	ds_store_b32 v13, v12
.LBB13_21:
	s_or_b32 exec_lo, exec_lo, s2
	s_delay_alu instid0(SALU_CYCLE_1)
	s_mov_b32 s2, exec_lo
	s_waitcnt lgkmcnt(0)
	s_barrier
	buffer_gl0_inv
	v_cmpx_gt_u32_e32 32, v0
	s_cbranch_execz .LBB13_23
; %bb.22:
	v_lshlrev_b32_e32 v1, 2, v1
	s_add_i32 s3, s12, 31
	s_delay_alu instid0(SALU_CYCLE_1) | instskip(NEXT) | instid1(SALU_CYCLE_1)
	s_lshr_b32 s3, s3, 5
	v_cmp_gt_u32_e32 vcc_lo, s3, v3
	ds_load_b32 v1, v1
	s_waitcnt lgkmcnt(0)
	ds_bpermute_b32 v2, v2, v1
	s_waitcnt lgkmcnt(0)
	v_add_f32_e32 v2, v1, v2
	s_delay_alu instid0(VALU_DEP_1) | instskip(SKIP_4) | instid1(VALU_DEP_1)
	v_cndmask_b32_e32 v1, v1, v2, vcc_lo
	v_cmp_gt_u32_e32 vcc_lo, s3, v4
	ds_bpermute_b32 v2, v5, v1
	s_waitcnt lgkmcnt(0)
	v_add_f32_e32 v2, v1, v2
	v_cndmask_b32_e32 v1, v1, v2, vcc_lo
	v_cmp_gt_u32_e32 vcc_lo, s3, v7
	ds_bpermute_b32 v2, v6, v1
	s_waitcnt lgkmcnt(0)
	v_add_f32_e32 v2, v1, v2
	s_delay_alu instid0(VALU_DEP_1) | instskip(SKIP_4) | instid1(VALU_DEP_1)
	v_cndmask_b32_e32 v1, v1, v2, vcc_lo
	v_cmp_gt_u32_e32 vcc_lo, s3, v9
	ds_bpermute_b32 v2, v8, v1
	s_waitcnt lgkmcnt(0)
	v_add_f32_e32 v2, v1, v2
	v_cndmask_b32_e32 v1, v1, v2, vcc_lo
	v_cmp_gt_u32_e32 vcc_lo, s3, v11
	ds_bpermute_b32 v2, v10, v1
	s_waitcnt lgkmcnt(0)
	v_add_f32_e32 v2, v1, v2
	s_delay_alu instid0(VALU_DEP_1)
	v_cndmask_b32_e32 v12, v1, v2, vcc_lo
.LBB13_23:
	s_or_b32 exec_lo, exec_lo, s2
	s_delay_alu instid0(SALU_CYCLE_1)
	s_mov_b32 s2, exec_lo
	v_cmpx_eq_u32_e32 0, v0
	s_cbranch_execz .LBB13_25
; %bb.24:
	v_cvt_f32_i32_e32 v1, s13
	s_load_b32 s3, s[0:1], 0x28
	s_delay_alu instid0(VALU_DEP_1) | instskip(SKIP_1) | instid1(VALU_DEP_2)
	v_div_scale_f32 v2, null, v1, v1, v12
	v_div_scale_f32 v5, vcc_lo, v12, v1, v12
	v_rcp_f32_e32 v3, v2
	s_waitcnt_depctr 0xfff
	v_fma_f32 v4, -v2, v3, 1.0
	s_delay_alu instid0(VALU_DEP_1) | instskip(NEXT) | instid1(VALU_DEP_1)
	v_fmac_f32_e32 v3, v4, v3
	v_mul_f32_e32 v4, v5, v3
	s_delay_alu instid0(VALU_DEP_1) | instskip(NEXT) | instid1(VALU_DEP_1)
	v_fma_f32 v6, -v2, v4, v5
	v_fmac_f32_e32 v4, v6, v3
	s_delay_alu instid0(VALU_DEP_1) | instskip(NEXT) | instid1(VALU_DEP_1)
	v_fma_f32 v2, -v2, v4, v5
	v_div_fmas_f32 v2, v2, v3, v4
	s_delay_alu instid0(VALU_DEP_1) | instskip(SKIP_1) | instid1(VALU_DEP_1)
	v_div_fixup_f32 v1, v2, v1, v12
	s_waitcnt lgkmcnt(0)
	v_add_f32_e32 v1, s3, v1
	s_delay_alu instid0(VALU_DEP_1) | instskip(SKIP_1) | instid1(VALU_DEP_2)
	v_mul_f32_e32 v2, 0x4b800000, v1
	v_cmp_gt_f32_e32 vcc_lo, 0x800000, v1
	v_cndmask_b32_e32 v1, v1, v2, vcc_lo
	s_delay_alu instid0(VALU_DEP_1) | instskip(SKIP_2) | instid1(VALU_DEP_1)
	v_rsq_f32_e32 v1, v1
	s_waitcnt_depctr 0xfff
	v_mul_f32_e32 v2, 0x45800000, v1
	v_dual_cndmask_b32 v1, v1, v2 :: v_dual_mov_b32 v2, 0
	ds_store_b32 v2, v1 offset:128
.LBB13_25:
	s_or_b32 exec_lo, exec_lo, s2
	s_lshr_b32 s2, s13, 31
	s_waitcnt lgkmcnt(0)
	s_add_i32 s2, s13, s2
	s_barrier
	s_ashr_i32 s10, s2, 1
	buffer_gl0_inv
	s_mov_b32 s2, exec_lo
	v_cmpx_gt_i32_e64 s10, v0
	s_cbranch_execz .LBB13_60
; %bb.26:
	s_clause 0x1
	s_load_b128 s[4:7], s[0:1], 0x18
	s_load_b64 s[2:3], s[0:1], 0x0
	s_mul_i32 s15, s15, s13
	s_lshl_b32 s11, s12, 2
	v_lshl_add_u32 v8, v0, 1, s15
	s_mov_b32 s13, 0x43e00000
	s_waitcnt lgkmcnt(0)
	s_load_b32 s7, s[6:7], 0x0
	s_lshl_b32 s6, s12, 1
	s_waitcnt lgkmcnt(0)
	v_div_scale_f32 v1, null, s7, s7, 1.0
	v_div_scale_f32 v4, vcc_lo, 1.0, s7, 1.0
	s_delay_alu instid0(VALU_DEP_2) | instskip(SKIP_2) | instid1(VALU_DEP_1)
	v_rcp_f32_e32 v3, v1
	s_waitcnt_depctr 0xfff
	v_fma_f32 v2, -v1, v3, 1.0
	v_dual_fmac_f32 v3, v2, v3 :: v_dual_mov_b32 v2, 0
	s_delay_alu instid0(VALU_DEP_1) | instskip(SKIP_2) | instid1(VALU_DEP_1)
	v_mul_f32_e32 v5, v4, v3
	ds_load_b32 v7, v2 offset:128
	v_fma_f32 v6, -v1, v5, v4
	v_fmac_f32_e32 v5, v6, v3
	s_delay_alu instid0(VALU_DEP_1) | instskip(NEXT) | instid1(VALU_DEP_1)
	v_fma_f32 v1, -v1, v5, v4
	v_div_fmas_f32 v3, v1, v3, v5
	v_lshl_or_b32 v1, v0, 2, 2
	s_delay_alu instid0(VALU_DEP_2) | instskip(NEXT) | instid1(VALU_DEP_2)
	v_div_fixup_f32 v9, v3, s7, 1.0
	v_dual_mov_b32 v4, v2 :: v_dual_mov_b32 v3, v1
	s_mov_b32 s7, 0
	s_branch .LBB13_28
.LBB13_27:                              ;   in Loop: Header=BB13_28 Depth=1
	s_or_b32 exec_lo, exec_lo, s0
	v_add_nc_u32_e32 v0, s12, v0
	v_add_co_u32 v3, s0, v3, s11
	v_add_nc_u32_e32 v1, 1, v8
	v_add_nc_u32_e32 v8, s6, v8
	s_delay_alu instid0(VALU_DEP_4) | instskip(SKIP_3) | instid1(SALU_CYCLE_1)
	v_cmp_le_i32_e32 vcc_lo, s10, v0
	v_add_co_ci_u32_e64 v4, s0, 0, v4, s0
	global_store_b8 v1, v11, s[2:3]
	s_or_b32 s7, vcc_lo, s7
	s_and_not1_b32 exec_lo, exec_lo, s7
	s_cbranch_execz .LBB13_60
.LBB13_28:                              ; =>This Inner Loop Header: Depth=1
	s_delay_alu instid0(VALU_DEP_1) | instskip(NEXT) | instid1(VALU_DEP_2)
	v_add_co_u32 v5, vcc_lo, s8, v3
	v_add_co_ci_u32_e32 v6, vcc_lo, s9, v4, vcc_lo
	s_mov_b32 s0, exec_lo
	v_mov_b32_e32 v15, v2
	global_load_b32 v10, v[5:6], off offset:-2
	v_add_co_u32 v5, vcc_lo, s4, v3
	v_add_co_ci_u32_e32 v6, vcc_lo, s5, v4, vcc_lo
	global_load_b32 v11, v[5:6], off offset:-2
	s_waitcnt vmcnt(1) lgkmcnt(0)
	v_fma_mixlo_f16 v1, v7, v10, 0 op_sel_hi:[0,1,0]
	s_waitcnt vmcnt(0)
	s_delay_alu instid0(VALU_DEP_1) | instskip(NEXT) | instid1(VALU_DEP_1)
	v_mul_f16_e32 v1, v11, v1
	v_cvt_f32_f16_e32 v1, v1
	s_delay_alu instid0(VALU_DEP_1) | instskip(NEXT) | instid1(VALU_DEP_1)
	v_mul_f32_e32 v1, v9, v1
	v_minmax_f32 v5, v1, s13, 0xc3e00000
	s_delay_alu instid0(VALU_DEP_1) | instskip(SKIP_2) | instid1(VALU_DEP_3)
	v_lshrrev_b32_e32 v13, 24, v5
	v_and_b32_e32 v14, 0x7f800000, v5
	v_and_b32_e32 v1, 0x7fffff, v5
	;; [unrolled: 1-line block ×3, first 2 shown]
	s_delay_alu instid0(VALU_DEP_1) | instskip(NEXT) | instid1(VALU_DEP_4)
	v_or_b32_e32 v6, 0x7e, v12
	v_cmpx_ne_u64_e32 0x7f800000, v[14:15]
	s_xor_b32 s14, exec_lo, s0
	s_cbranch_execz .LBB13_42
; %bb.29:                               ;   in Loop: Header=BB13_28 Depth=1
	v_dual_mov_b32 v14, v2 :: v_dual_and_b32 v13, 0x7fffffff, v5
	s_mov_b32 s0, exec_lo
	s_delay_alu instid0(VALU_DEP_1)
	v_cmpx_gt_u64_e32 0x43e00001, v[13:14]
	s_xor_b32 s15, exec_lo, s0
	s_cbranch_execz .LBB13_41
; %bb.30:                               ;   in Loop: Header=BB13_28 Depth=1
	v_mov_b32_e32 v6, 0
	s_mov_b32 s16, exec_lo
	v_cmpx_ne_u32_e32 0, v5
	s_cbranch_execz .LBB13_40
; %bb.31:                               ;   in Loop: Header=BB13_28 Depth=1
	v_bfe_u32 v17, v5, 23, 8
	s_delay_alu instid0(VALU_DEP_1) | instskip(SKIP_2) | instid1(VALU_DEP_3)
	v_sub_nc_u32_e64 v5, 0x79, v17 clamp
	v_cmp_eq_u32_e32 vcc_lo, 0, v17
	v_add_nc_u32_e32 v17, 0xffffff88, v17
	v_cndmask_b32_e64 v18, v5, 0x78, vcc_lo
	v_or_b32_e32 v5, 0x800000, v1
	s_delay_alu instid0(VALU_DEP_1) | instskip(SKIP_1) | instid1(VALU_DEP_2)
	v_dual_cndmask_b32 v1, v5, v1 :: v_dual_add_nc_u32 v6, 20, v18
	v_add_nc_u32_e32 v13, 19, v18
	v_lshlrev_b64 v[5:6], v6, -1
	s_delay_alu instid0(VALU_DEP_3) | instskip(NEXT) | instid1(VALU_DEP_2)
	v_lshrrev_b64 v[15:16], v18, v[1:2]
	v_not_b32_e32 v14, v6
	s_delay_alu instid0(VALU_DEP_3) | instskip(SKIP_1) | instid1(VALU_DEP_3)
	v_not_b32_e32 v19, v5
	v_lshlrev_b64 v[5:6], v13, 1
	v_and_b32_e32 v14, 0, v14
	s_delay_alu instid0(VALU_DEP_3) | instskip(SKIP_1) | instid1(VALU_DEP_2)
	v_and_b32_e32 v13, v1, v19
	v_and_b32_e32 v1, 0x100000, v15
	v_cmp_eq_u64_e64 s0, v[13:14], v[5:6]
	s_delay_alu instid0(VALU_DEP_2) | instskip(SKIP_2) | instid1(VALU_DEP_3)
	v_cmp_eq_u64_e64 s1, 0, v[1:2]
	v_cndmask_b32_e64 v1, v17, 0xffffff89, vcc_lo
	v_lshrrev_b32_e32 v5, 23, v15
	s_and_b32 vcc_lo, s1, s0
	s_delay_alu instid0(VALU_DEP_1) | instskip(SKIP_2) | instid1(VALU_DEP_2)
	v_add3_u32 v13, v1, v18, v5
	v_subrev_co_ci_u32_e32 v6, vcc_lo, 0, v15, vcc_lo
	s_mov_b32 s0, exec_lo
	v_add_nc_u32_e32 v14, -1, v13
	s_delay_alu instid0(VALU_DEP_2) | instskip(NEXT) | instid1(VALU_DEP_1)
	v_and_b32_e32 v1, 0xfffff, v6
	v_add_co_u32 v5, vcc_lo, v1, v15
	v_add_co_ci_u32_e32 v6, vcc_lo, 0, v16, vcc_lo
                                        ; implicit-def: $vgpr1
	s_delay_alu instid0(VALU_DEP_4)
	v_cmpx_ne_u32_e32 0, v14
	s_xor_b32 s0, exec_lo, s0
; %bb.32:                               ;   in Loop: Header=BB13_28 Depth=1
	s_delay_alu instid0(VALU_DEP_3) | instskip(SKIP_1) | instid1(VALU_DEP_2)
	v_and_b32_e32 v1, 0x1000000, v5
	v_bfe_u32 v15, v5, 24, 1
	v_cmp_eq_u64_e32 vcc_lo, 0, v[1:2]
	s_delay_alu instid0(VALU_DEP_2)
	v_lshrrev_b64 v[5:6], v15, v[5:6]
	v_cndmask_b32_e32 v1, v13, v14, vcc_lo
; %bb.33:                               ;   in Loop: Header=BB13_28 Depth=1
	s_and_not1_saveexec_b32 s0, s0
; %bb.34:                               ;   in Loop: Header=BB13_28 Depth=1
	s_delay_alu instid0(VALU_DEP_2)
	v_bfe_u32 v1, v5, 23, 1
; %bb.35:                               ;   in Loop: Header=BB13_28 Depth=1
	s_or_b32 exec_lo, exec_lo, s0
	s_delay_alu instid0(VALU_DEP_3) | instskip(NEXT) | instid1(VALU_DEP_2)
	v_lshrrev_b64 v[5:6], 20, v[5:6]
	v_cmp_gt_i32_e32 vcc_lo, 16, v1
	v_cmp_ne_u32_e64 s0, 0, v1
	s_delay_alu instid0(VALU_DEP_3) | instskip(NEXT) | instid1(VALU_DEP_1)
	v_dual_cndmask_b32 v6, 0, v6 :: v_dual_cndmask_b32 v5, 7, v5
	v_cmp_ne_u64_e32 vcc_lo, 0, v[5:6]
                                        ; implicit-def: $vgpr6
	s_delay_alu instid0(VALU_DEP_3) | instskip(NEXT) | instid1(SALU_CYCLE_1)
	s_or_b32 s0, s0, vcc_lo
	s_and_saveexec_b32 s1, s0
	s_delay_alu instid0(SALU_CYCLE_1)
	s_xor_b32 s0, exec_lo, s1
; %bb.36:                               ;   in Loop: Header=BB13_28 Depth=1
	v_min_i32_e32 v1, 15, v1
	s_delay_alu instid0(VALU_DEP_1) | instskip(NEXT) | instid1(VALU_DEP_1)
	v_lshl_or_b32 v1, v1, 3, v12
                                        ; implicit-def: $vgpr12
	v_and_or_b32 v6, v5, 7, v1
; %bb.37:                               ;   in Loop: Header=BB13_28 Depth=1
	s_and_not1_saveexec_b32 s0, s0
; %bb.38:                               ;   in Loop: Header=BB13_28 Depth=1
	v_mov_b32_e32 v6, v12
; %bb.39:                               ;   in Loop: Header=BB13_28 Depth=1
	s_or_b32 exec_lo, exec_lo, s0
.LBB13_40:                              ;   in Loop: Header=BB13_28 Depth=1
	s_delay_alu instid0(SALU_CYCLE_1)
	s_or_b32 exec_lo, exec_lo, s16
.LBB13_41:                              ;   in Loop: Header=BB13_28 Depth=1
	s_and_not1_saveexec_b32 s0, s15
	s_delay_alu instid0(SALU_CYCLE_1)
	s_or_b32 exec_lo, exec_lo, s0
                                        ; implicit-def: $vgpr13
.LBB13_42:                              ;   in Loop: Header=BB13_28 Depth=1
	s_and_not1_saveexec_b32 s0, s14
; %bb.43:                               ;   in Loop: Header=BB13_28 Depth=1
	v_cmp_eq_u64_e32 vcc_lo, 0, v[1:2]
	v_or_b32_e32 v5, 0x7f, v13
	s_delay_alu instid0(VALU_DEP_1)
	v_cndmask_b32_e32 v6, v5, v6, vcc_lo
; %bb.44:                               ;   in Loop: Header=BB13_28 Depth=1
	s_or_b32 exec_lo, exec_lo, s0
	v_lshrrev_b32_e32 v1, 16, v11
	v_fma_mixlo_f16 v5, v7, v10, 0 op_sel:[0,1,0] op_sel_hi:[0,1,0]
	global_store_b8 v8, v6, s[2:3]
	s_mov_b32 s0, exec_lo
	v_mov_b32_e32 v14, v2
	v_mul_f16_e32 v1, v1, v5
	s_delay_alu instid0(VALU_DEP_1) | instskip(NEXT) | instid1(VALU_DEP_1)
	v_cvt_f32_f16_e32 v1, v1
	v_mul_f32_e32 v1, v9, v1
	s_delay_alu instid0(VALU_DEP_1) | instskip(NEXT) | instid1(VALU_DEP_1)
	v_minmax_f32 v5, v1, s13, 0xc3e00000
	v_lshrrev_b32_e32 v12, 24, v5
	v_and_b32_e32 v13, 0x7f800000, v5
	v_and_b32_e32 v1, 0x7fffff, v5
	s_delay_alu instid0(VALU_DEP_3) | instskip(NEXT) | instid1(VALU_DEP_1)
	v_and_b32_e32 v10, 0x80, v12
	v_or_b32_e32 v11, 0x7e, v10
	s_delay_alu instid0(VALU_DEP_4)
	v_cmpx_ne_u64_e32 0x7f800000, v[13:14]
	s_xor_b32 s14, exec_lo, s0
	s_cbranch_execz .LBB13_58
; %bb.45:                               ;   in Loop: Header=BB13_28 Depth=1
	v_dual_mov_b32 v13, v2 :: v_dual_and_b32 v12, 0x7fffffff, v5
	s_mov_b32 s0, exec_lo
	s_delay_alu instid0(VALU_DEP_1)
	v_cmpx_gt_u64_e32 0x43e00001, v[12:13]
	s_xor_b32 s15, exec_lo, s0
	s_cbranch_execz .LBB13_57
; %bb.46:                               ;   in Loop: Header=BB13_28 Depth=1
	v_mov_b32_e32 v11, 0
	s_mov_b32 s16, exec_lo
	v_cmpx_ne_u32_e32 0, v5
	s_cbranch_execz .LBB13_56
; %bb.47:                               ;   in Loop: Header=BB13_28 Depth=1
	v_bfe_u32 v15, v5, 23, 8
	s_delay_alu instid0(VALU_DEP_1) | instskip(SKIP_2) | instid1(VALU_DEP_3)
	v_sub_nc_u32_e64 v5, 0x79, v15 clamp
	v_cmp_eq_u32_e32 vcc_lo, 0, v15
	v_add_nc_u32_e32 v15, 0xffffff88, v15
	v_cndmask_b32_e64 v16, v5, 0x78, vcc_lo
	v_or_b32_e32 v5, 0x800000, v1
	s_delay_alu instid0(VALU_DEP_1) | instskip(SKIP_1) | instid1(VALU_DEP_2)
	v_dual_cndmask_b32 v1, v5, v1 :: v_dual_add_nc_u32 v6, 20, v16
	v_add_nc_u32_e32 v11, 19, v16
	v_lshlrev_b64 v[5:6], v6, -1
	s_delay_alu instid0(VALU_DEP_3) | instskip(NEXT) | instid1(VALU_DEP_2)
	v_lshrrev_b64 v[13:14], v16, v[1:2]
	v_not_b32_e32 v12, v6
	s_delay_alu instid0(VALU_DEP_3) | instskip(SKIP_1) | instid1(VALU_DEP_3)
	v_not_b32_e32 v17, v5
	v_lshlrev_b64 v[5:6], v11, 1
	v_and_b32_e32 v12, 0, v12
	s_delay_alu instid0(VALU_DEP_3) | instskip(SKIP_1) | instid1(VALU_DEP_2)
	v_and_b32_e32 v11, v1, v17
	v_and_b32_e32 v1, 0x100000, v13
	v_cmp_eq_u64_e64 s0, v[11:12], v[5:6]
	s_delay_alu instid0(VALU_DEP_2) | instskip(SKIP_2) | instid1(VALU_DEP_3)
	v_cmp_eq_u64_e64 s1, 0, v[1:2]
	v_cndmask_b32_e64 v1, v15, 0xffffff89, vcc_lo
	v_lshrrev_b32_e32 v5, 23, v13
	s_and_b32 vcc_lo, s1, s0
	s_delay_alu instid0(VALU_DEP_1) | instskip(SKIP_2) | instid1(VALU_DEP_2)
	v_add3_u32 v11, v1, v16, v5
	v_subrev_co_ci_u32_e32 v6, vcc_lo, 0, v13, vcc_lo
	s_mov_b32 s0, exec_lo
	v_add_nc_u32_e32 v12, -1, v11
	s_delay_alu instid0(VALU_DEP_2) | instskip(NEXT) | instid1(VALU_DEP_1)
	v_and_b32_e32 v1, 0xfffff, v6
	v_add_co_u32 v5, vcc_lo, v1, v13
	v_add_co_ci_u32_e32 v6, vcc_lo, 0, v14, vcc_lo
                                        ; implicit-def: $vgpr1
	s_delay_alu instid0(VALU_DEP_4)
	v_cmpx_ne_u32_e32 0, v12
	s_xor_b32 s0, exec_lo, s0
; %bb.48:                               ;   in Loop: Header=BB13_28 Depth=1
	s_delay_alu instid0(VALU_DEP_3) | instskip(SKIP_1) | instid1(VALU_DEP_2)
	v_and_b32_e32 v1, 0x1000000, v5
	v_bfe_u32 v13, v5, 24, 1
	v_cmp_eq_u64_e32 vcc_lo, 0, v[1:2]
	s_delay_alu instid0(VALU_DEP_2)
	v_lshrrev_b64 v[5:6], v13, v[5:6]
	v_cndmask_b32_e32 v1, v11, v12, vcc_lo
; %bb.49:                               ;   in Loop: Header=BB13_28 Depth=1
	s_and_not1_saveexec_b32 s0, s0
; %bb.50:                               ;   in Loop: Header=BB13_28 Depth=1
	s_delay_alu instid0(VALU_DEP_2)
	v_bfe_u32 v1, v5, 23, 1
; %bb.51:                               ;   in Loop: Header=BB13_28 Depth=1
	s_or_b32 exec_lo, exec_lo, s0
	s_delay_alu instid0(VALU_DEP_3) | instskip(NEXT) | instid1(VALU_DEP_2)
	v_lshrrev_b64 v[5:6], 20, v[5:6]
	v_cmp_gt_i32_e32 vcc_lo, 16, v1
	v_cmp_ne_u32_e64 s0, 0, v1
                                        ; implicit-def: $vgpr11
	s_delay_alu instid0(VALU_DEP_3) | instskip(NEXT) | instid1(VALU_DEP_1)
	v_dual_cndmask_b32 v6, 0, v6 :: v_dual_cndmask_b32 v5, 7, v5
	v_cmp_ne_u64_e32 vcc_lo, 0, v[5:6]
	s_delay_alu instid0(VALU_DEP_3) | instskip(NEXT) | instid1(SALU_CYCLE_1)
	s_or_b32 s0, s0, vcc_lo
	s_and_saveexec_b32 s1, s0
	s_delay_alu instid0(SALU_CYCLE_1)
	s_xor_b32 s0, exec_lo, s1
; %bb.52:                               ;   in Loop: Header=BB13_28 Depth=1
	v_min_i32_e32 v1, 15, v1
	s_delay_alu instid0(VALU_DEP_1) | instskip(NEXT) | instid1(VALU_DEP_1)
	v_lshl_or_b32 v1, v1, 3, v10
                                        ; implicit-def: $vgpr10
	v_and_or_b32 v11, v5, 7, v1
; %bb.53:                               ;   in Loop: Header=BB13_28 Depth=1
	s_and_not1_saveexec_b32 s0, s0
; %bb.54:                               ;   in Loop: Header=BB13_28 Depth=1
	v_mov_b32_e32 v11, v10
; %bb.55:                               ;   in Loop: Header=BB13_28 Depth=1
	s_or_b32 exec_lo, exec_lo, s0
.LBB13_56:                              ;   in Loop: Header=BB13_28 Depth=1
	s_delay_alu instid0(SALU_CYCLE_1)
	s_or_b32 exec_lo, exec_lo, s16
.LBB13_57:                              ;   in Loop: Header=BB13_28 Depth=1
	s_and_not1_saveexec_b32 s0, s15
	s_delay_alu instid0(SALU_CYCLE_1)
	s_or_b32 exec_lo, exec_lo, s0
                                        ; implicit-def: $vgpr12
.LBB13_58:                              ;   in Loop: Header=BB13_28 Depth=1
	s_and_not1_saveexec_b32 s0, s14
	s_cbranch_execz .LBB13_27
; %bb.59:                               ;   in Loop: Header=BB13_28 Depth=1
	v_cmp_eq_u64_e32 vcc_lo, 0, v[1:2]
	v_or_b32_e32 v5, 0x7f, v12
	s_delay_alu instid0(VALU_DEP_1)
	v_cndmask_b32_e32 v11, v5, v11, vcc_lo
	s_branch .LBB13_27
.LBB13_60:
	s_nop 0
	s_sendmsg sendmsg(MSG_DEALLOC_VGPRS)
	s_endpgm
	.section	.rodata,"a",@progbits
	.p2align	6, 0x0
	.amdhsa_kernel _ZN4vllm32rms_norm_static_fp8_quant_kernelIN3c104HalfENS1_13Float8_e4m3fnELi2EEEvPT0_PKT_iS8_PKffii
		.amdhsa_group_segment_fixed_size 132
		.amdhsa_private_segment_fixed_size 0
		.amdhsa_kernarg_size 312
		.amdhsa_user_sgpr_count 15
		.amdhsa_user_sgpr_dispatch_ptr 0
		.amdhsa_user_sgpr_queue_ptr 0
		.amdhsa_user_sgpr_kernarg_segment_ptr 1
		.amdhsa_user_sgpr_dispatch_id 0
		.amdhsa_user_sgpr_private_segment_size 0
		.amdhsa_wavefront_size32 1
		.amdhsa_uses_dynamic_stack 0
		.amdhsa_enable_private_segment 0
		.amdhsa_system_sgpr_workgroup_id_x 1
		.amdhsa_system_sgpr_workgroup_id_y 0
		.amdhsa_system_sgpr_workgroup_id_z 0
		.amdhsa_system_sgpr_workgroup_info 0
		.amdhsa_system_vgpr_workitem_id 0
		.amdhsa_next_free_vgpr 20
		.amdhsa_next_free_sgpr 20
		.amdhsa_reserve_vcc 1
		.amdhsa_float_round_mode_32 0
		.amdhsa_float_round_mode_16_64 0
		.amdhsa_float_denorm_mode_32 3
		.amdhsa_float_denorm_mode_16_64 3
		.amdhsa_dx10_clamp 1
		.amdhsa_ieee_mode 1
		.amdhsa_fp16_overflow 0
		.amdhsa_workgroup_processor_mode 1
		.amdhsa_memory_ordered 1
		.amdhsa_forward_progress 0
		.amdhsa_shared_vgpr_count 0
		.amdhsa_exception_fp_ieee_invalid_op 0
		.amdhsa_exception_fp_denorm_src 0
		.amdhsa_exception_fp_ieee_div_zero 0
		.amdhsa_exception_fp_ieee_overflow 0
		.amdhsa_exception_fp_ieee_underflow 0
		.amdhsa_exception_fp_ieee_inexact 0
		.amdhsa_exception_int_div_zero 0
	.end_amdhsa_kernel
	.section	.text._ZN4vllm32rms_norm_static_fp8_quant_kernelIN3c104HalfENS1_13Float8_e4m3fnELi2EEEvPT0_PKT_iS8_PKffii,"axG",@progbits,_ZN4vllm32rms_norm_static_fp8_quant_kernelIN3c104HalfENS1_13Float8_e4m3fnELi2EEEvPT0_PKT_iS8_PKffii,comdat
.Lfunc_end13:
	.size	_ZN4vllm32rms_norm_static_fp8_quant_kernelIN3c104HalfENS1_13Float8_e4m3fnELi2EEEvPT0_PKT_iS8_PKffii, .Lfunc_end13-_ZN4vllm32rms_norm_static_fp8_quant_kernelIN3c104HalfENS1_13Float8_e4m3fnELi2EEEvPT0_PKT_iS8_PKffii
                                        ; -- End function
	.section	.AMDGPU.csdata,"",@progbits
; Kernel info:
; codeLenInByte = 3048
; NumSgprs: 22
; NumVgprs: 20
; ScratchSize: 0
; MemoryBound: 0
; FloatMode: 240
; IeeeMode: 1
; LDSByteSize: 132 bytes/workgroup (compile time only)
; SGPRBlocks: 2
; VGPRBlocks: 2
; NumSGPRsForWavesPerEU: 22
; NumVGPRsForWavesPerEU: 20
; Occupancy: 16
; WaveLimiterHint : 0
; COMPUTE_PGM_RSRC2:SCRATCH_EN: 0
; COMPUTE_PGM_RSRC2:USER_SGPR: 15
; COMPUTE_PGM_RSRC2:TRAP_HANDLER: 0
; COMPUTE_PGM_RSRC2:TGID_X_EN: 1
; COMPUTE_PGM_RSRC2:TGID_Y_EN: 0
; COMPUTE_PGM_RSRC2:TGID_Z_EN: 0
; COMPUTE_PGM_RSRC2:TIDIG_COMP_CNT: 0
	.section	.text._ZN4vllm32rms_norm_static_fp8_quant_kernelIN3c104HalfENS1_13Float8_e4m3fnELi1EEEvPT0_PKT_iS8_PKffii,"axG",@progbits,_ZN4vllm32rms_norm_static_fp8_quant_kernelIN3c104HalfENS1_13Float8_e4m3fnELi1EEEvPT0_PKT_iS8_PKffii,comdat
	.protected	_ZN4vllm32rms_norm_static_fp8_quant_kernelIN3c104HalfENS1_13Float8_e4m3fnELi1EEEvPT0_PKT_iS8_PKffii ; -- Begin function _ZN4vllm32rms_norm_static_fp8_quant_kernelIN3c104HalfENS1_13Float8_e4m3fnELi1EEEvPT0_PKT_iS8_PKffii
	.globl	_ZN4vllm32rms_norm_static_fp8_quant_kernelIN3c104HalfENS1_13Float8_e4m3fnELi1EEEvPT0_PKT_iS8_PKffii
	.p2align	8
	.type	_ZN4vllm32rms_norm_static_fp8_quant_kernelIN3c104HalfENS1_13Float8_e4m3fnELi1EEEvPT0_PKT_iS8_PKffii,@function
_ZN4vllm32rms_norm_static_fp8_quant_kernelIN3c104HalfENS1_13Float8_e4m3fnELi1EEEvPT0_PKT_iS8_PKffii: ; @_ZN4vllm32rms_norm_static_fp8_quant_kernelIN3c104HalfENS1_13Float8_e4m3fnELi1EEEvPT0_PKT_iS8_PKffii
; %bb.0:
	s_clause 0x3
	s_load_b32 s2, s[0:1], 0x10
	s_load_b64 s[4:5], s[0:1], 0x8
	s_load_b32 s11, s[0:1], 0x44
	s_load_b32 s8, s[0:1], 0x30
	s_mov_b32 s3, 0
	s_waitcnt lgkmcnt(0)
	s_mul_i32 s2, s15, s2
	s_delay_alu instid0(SALU_CYCLE_1) | instskip(NEXT) | instid1(SALU_CYCLE_1)
	s_lshl_b64 s[6:7], s[2:3], 1
	s_add_u32 s9, s4, s6
	s_addc_u32 s10, s5, s7
	s_and_b32 s11, s11, 0xffff
	s_bitcmp1_b32 s9, 0
	s_cselect_b32 s2, -1, 0
	s_delay_alu instid0(SALU_CYCLE_1)
	s_and_b32 vcc_lo, exec_lo, s2
	s_cbranch_vccz .LBB14_6
; %bb.1:
	v_mov_b32_e32 v3, 0
	s_min_i32 s2, s8, 0
	s_mov_b32 s12, exec_lo
	s_sub_i32 s13, s8, s2
	s_delay_alu instid0(SALU_CYCLE_1)
	v_cmpx_gt_i32_e64 s13, v0
	s_cbranch_execz .LBB14_5
; %bb.2:
	s_ashr_i32 s3, s2, 31
	v_dual_mov_b32 v4, v0 :: v_dual_lshlrev_b32 v1, 1, v0
	s_lshl_b64 s[2:3], s[2:3], 1
	s_add_u32 s14, s4, s6
	s_addc_u32 s16, s5, s7
	s_add_u32 s2, s14, s2
	s_addc_u32 s3, s16, s3
	v_add_co_u32 v1, s2, s2, v1
	s_delay_alu instid0(VALU_DEP_1)
	v_add_co_ci_u32_e64 v2, null, s3, 0, s2
	v_mov_b32_e32 v3, 0
	s_mov_b32 s3, 0
	s_lshl_b32 s14, s11, 1
.LBB14_3:                               ; =>This Inner Loop Header: Depth=1
	global_load_u16 v5, v[1:2], off
	v_add_nc_u32_e32 v4, s11, v4
	v_add_co_u32 v1, vcc_lo, v1, s14
	v_add_co_ci_u32_e32 v2, vcc_lo, 0, v2, vcc_lo
	s_delay_alu instid0(VALU_DEP_3) | instskip(NEXT) | instid1(VALU_DEP_1)
	v_cmp_le_i32_e64 s2, s13, v4
	s_or_b32 s3, s2, s3
	s_waitcnt vmcnt(0)
	v_fma_mix_f32 v3, v5, v5, v3 op_sel_hi:[1,1,0]
	s_and_not1_b32 exec_lo, exec_lo, s3
	s_cbranch_execnz .LBB14_3
; %bb.4:
	s_or_b32 exec_lo, exec_lo, s3
.LBB14_5:
	s_delay_alu instid0(SALU_CYCLE_1)
	s_or_b32 exec_lo, exec_lo, s12
	v_cmp_gt_i32_e64 s2, s8, v0
	s_cbranch_execz .LBB14_7
	s_branch .LBB14_12
.LBB14_6:
                                        ; implicit-def: $vgpr3
	v_cmp_gt_i32_e64 s2, s8, v0
.LBB14_7:
	v_mov_b32_e32 v3, 0
	s_delay_alu instid0(VALU_DEP_2)
	s_and_saveexec_b32 s3, s2
	s_cbranch_execz .LBB14_11
; %bb.8:
	v_dual_mov_b32 v4, v0 :: v_dual_lshlrev_b32 v1, 1, v0
	s_add_u32 s2, s4, s6
	s_addc_u32 s4, s5, s7
	v_mov_b32_e32 v3, 0
	s_delay_alu instid0(VALU_DEP_2) | instskip(NEXT) | instid1(VALU_DEP_1)
	v_add_co_u32 v1, s2, s2, v1
	v_add_co_ci_u32_e64 v2, null, s4, 0, s2
	s_mov_b32 s4, 0
	s_lshl_b32 s5, s11, 1
.LBB14_9:                               ; =>This Inner Loop Header: Depth=1
	global_load_u16 v5, v[1:2], off
	v_add_nc_u32_e32 v4, s11, v4
	v_add_co_u32 v1, vcc_lo, v1, s5
	v_add_co_ci_u32_e32 v2, vcc_lo, 0, v2, vcc_lo
	s_delay_alu instid0(VALU_DEP_3) | instskip(NEXT) | instid1(VALU_DEP_1)
	v_cmp_le_i32_e64 s2, s8, v4
	s_or_b32 s4, s2, s4
	s_waitcnt vmcnt(0)
	v_fma_mix_f32 v3, v5, v5, v3 op_sel_hi:[1,1,0]
	s_and_not1_b32 exec_lo, exec_lo, s4
	s_cbranch_execnz .LBB14_9
; %bb.10:
	s_or_b32 exec_lo, exec_lo, s4
.LBB14_11:
	s_delay_alu instid0(SALU_CYCLE_1)
	s_or_b32 exec_lo, exec_lo, s3
.LBB14_12:
	v_mbcnt_lo_u32_b32 v1, -1, 0
	s_mov_b32 s2, exec_lo
	s_delay_alu instid0(VALU_DEP_1) | instskip(SKIP_2) | instid1(VALU_DEP_2)
	v_cmp_ne_u32_e32 vcc_lo, 31, v1
	v_add_co_ci_u32_e32 v2, vcc_lo, 0, v1, vcc_lo
	v_cmp_gt_u32_e32 vcc_lo, 30, v1
	v_lshlrev_b32_e32 v2, 2, v2
	v_cndmask_b32_e64 v6, 0, 1, vcc_lo
	ds_bpermute_b32 v5, v2, v3
	s_waitcnt lgkmcnt(0)
	v_dual_add_f32 v7, v3, v5 :: v_dual_and_b32 v4, 0x3e0, v0
	s_delay_alu instid0(VALU_DEP_1) | instskip(SKIP_1) | instid1(VALU_DEP_1)
	v_sub_nc_u32_e64 v12, s11, v4 clamp
	v_add_nc_u32_e32 v4, 1, v1
	v_cmp_lt_u32_e32 vcc_lo, v4, v12
	s_delay_alu instid0(VALU_DEP_4) | instskip(SKIP_2) | instid1(VALU_DEP_1)
	v_cndmask_b32_e32 v7, v3, v7, vcc_lo
	v_cmp_gt_u32_e32 vcc_lo, 28, v1
	v_cndmask_b32_e64 v3, 0, 1, vcc_lo
	v_lshlrev_b32_e32 v8, 2, v3
	v_add_nc_u32_e32 v3, 2, v1
	s_delay_alu instid0(VALU_DEP_1) | instskip(SKIP_1) | instid1(VALU_DEP_1)
	v_cmp_lt_u32_e32 vcc_lo, v3, v12
	v_lshlrev_b32_e32 v6, 1, v6
	v_add_lshl_u32 v5, v6, v1, 2
	ds_bpermute_b32 v6, v5, v7
	s_waitcnt lgkmcnt(0)
	v_add_f32_e32 v9, v7, v6
	v_add_lshl_u32 v6, v8, v1, 2
	s_delay_alu instid0(VALU_DEP_2) | instskip(SKIP_3) | instid1(VALU_DEP_1)
	v_cndmask_b32_e32 v9, v7, v9, vcc_lo
	v_cmp_gt_u32_e32 vcc_lo, 24, v1
	ds_bpermute_b32 v8, v6, v9
	v_cndmask_b32_e64 v7, 0, 1, vcc_lo
	v_lshlrev_b32_e32 v10, 3, v7
	v_add_nc_u32_e32 v7, 4, v1
	s_delay_alu instid0(VALU_DEP_1) | instskip(SKIP_3) | instid1(VALU_DEP_2)
	v_cmp_lt_u32_e32 vcc_lo, v7, v12
	s_waitcnt lgkmcnt(0)
	v_add_f32_e32 v11, v9, v8
	v_add_lshl_u32 v8, v10, v1, 2
	v_cndmask_b32_e32 v11, v9, v11, vcc_lo
	v_cmp_gt_u32_e32 vcc_lo, 16, v1
	ds_bpermute_b32 v10, v8, v11
	v_cndmask_b32_e64 v9, 0, 1, vcc_lo
	s_delay_alu instid0(VALU_DEP_1) | instskip(SKIP_1) | instid1(VALU_DEP_1)
	v_lshlrev_b32_e32 v13, 4, v9
	v_add_nc_u32_e32 v9, 8, v1
	v_cmp_lt_u32_e32 vcc_lo, v9, v12
	s_waitcnt lgkmcnt(0)
	v_add_f32_e32 v14, v11, v10
	v_add_lshl_u32 v10, v13, v1, 2
	s_delay_alu instid0(VALU_DEP_2)
	v_cndmask_b32_e32 v13, v11, v14, vcc_lo
	v_add_nc_u32_e32 v11, 16, v1
	ds_bpermute_b32 v14, v10, v13
	v_cmp_lt_u32_e32 vcc_lo, v11, v12
	s_waitcnt lgkmcnt(0)
	v_add_f32_e32 v14, v13, v14
	s_delay_alu instid0(VALU_DEP_1)
	v_cndmask_b32_e32 v12, v13, v14, vcc_lo
	v_cmpx_eq_u32_e32 0, v1
	s_cbranch_execz .LBB14_14
; %bb.13:
	v_lshrrev_b32_e32 v13, 3, v0
	s_delay_alu instid0(VALU_DEP_1)
	v_and_b32_e32 v13, 0x7c, v13
	ds_store_b32 v13, v12
.LBB14_14:
	s_or_b32 exec_lo, exec_lo, s2
	s_delay_alu instid0(SALU_CYCLE_1)
	s_mov_b32 s2, exec_lo
	s_waitcnt lgkmcnt(0)
	s_barrier
	buffer_gl0_inv
	v_cmpx_gt_u32_e32 32, v0
	s_cbranch_execz .LBB14_16
; %bb.15:
	v_lshlrev_b32_e32 v1, 2, v1
	s_add_i32 s3, s11, 31
	s_delay_alu instid0(SALU_CYCLE_1) | instskip(NEXT) | instid1(SALU_CYCLE_1)
	s_lshr_b32 s3, s3, 5
	v_cmp_gt_u32_e32 vcc_lo, s3, v4
	ds_load_b32 v1, v1
	s_waitcnt lgkmcnt(0)
	ds_bpermute_b32 v2, v2, v1
	s_waitcnt lgkmcnt(0)
	v_add_f32_e32 v2, v1, v2
	s_delay_alu instid0(VALU_DEP_1) | instskip(SKIP_4) | instid1(VALU_DEP_1)
	v_cndmask_b32_e32 v1, v1, v2, vcc_lo
	v_cmp_gt_u32_e32 vcc_lo, s3, v3
	ds_bpermute_b32 v2, v5, v1
	s_waitcnt lgkmcnt(0)
	v_add_f32_e32 v2, v1, v2
	v_cndmask_b32_e32 v1, v1, v2, vcc_lo
	v_cmp_gt_u32_e32 vcc_lo, s3, v7
	ds_bpermute_b32 v2, v6, v1
	s_waitcnt lgkmcnt(0)
	v_add_f32_e32 v2, v1, v2
	s_delay_alu instid0(VALU_DEP_1) | instskip(SKIP_4) | instid1(VALU_DEP_1)
	v_cndmask_b32_e32 v1, v1, v2, vcc_lo
	v_cmp_gt_u32_e32 vcc_lo, s3, v9
	ds_bpermute_b32 v2, v8, v1
	s_waitcnt lgkmcnt(0)
	v_add_f32_e32 v2, v1, v2
	v_cndmask_b32_e32 v1, v1, v2, vcc_lo
	v_cmp_gt_u32_e32 vcc_lo, s3, v11
	ds_bpermute_b32 v2, v10, v1
	s_waitcnt lgkmcnt(0)
	v_add_f32_e32 v2, v1, v2
	s_delay_alu instid0(VALU_DEP_1)
	v_cndmask_b32_e32 v12, v1, v2, vcc_lo
.LBB14_16:
	s_or_b32 exec_lo, exec_lo, s2
	s_delay_alu instid0(SALU_CYCLE_1)
	s_mov_b32 s2, exec_lo
	v_cmpx_eq_u32_e32 0, v0
	s_cbranch_execz .LBB14_18
; %bb.17:
	v_cvt_f32_i32_e32 v1, s8
	s_load_b32 s3, s[0:1], 0x28
	s_delay_alu instid0(VALU_DEP_1) | instskip(SKIP_1) | instid1(VALU_DEP_2)
	v_div_scale_f32 v2, null, v1, v1, v12
	v_div_scale_f32 v5, vcc_lo, v12, v1, v12
	v_rcp_f32_e32 v3, v2
	s_waitcnt_depctr 0xfff
	v_fma_f32 v4, -v2, v3, 1.0
	s_delay_alu instid0(VALU_DEP_1) | instskip(NEXT) | instid1(VALU_DEP_1)
	v_fmac_f32_e32 v3, v4, v3
	v_mul_f32_e32 v4, v5, v3
	s_delay_alu instid0(VALU_DEP_1) | instskip(NEXT) | instid1(VALU_DEP_1)
	v_fma_f32 v6, -v2, v4, v5
	v_fmac_f32_e32 v4, v6, v3
	s_delay_alu instid0(VALU_DEP_1) | instskip(NEXT) | instid1(VALU_DEP_1)
	v_fma_f32 v2, -v2, v4, v5
	v_div_fmas_f32 v2, v2, v3, v4
	s_delay_alu instid0(VALU_DEP_1) | instskip(SKIP_1) | instid1(VALU_DEP_1)
	v_div_fixup_f32 v1, v2, v1, v12
	s_waitcnt lgkmcnt(0)
	v_add_f32_e32 v1, s3, v1
	s_delay_alu instid0(VALU_DEP_1) | instskip(SKIP_1) | instid1(VALU_DEP_2)
	v_mul_f32_e32 v2, 0x4b800000, v1
	v_cmp_gt_f32_e32 vcc_lo, 0x800000, v1
	v_cndmask_b32_e32 v1, v1, v2, vcc_lo
	s_delay_alu instid0(VALU_DEP_1) | instskip(SKIP_2) | instid1(VALU_DEP_1)
	v_rsq_f32_e32 v1, v1
	s_waitcnt_depctr 0xfff
	v_mul_f32_e32 v2, 0x45800000, v1
	v_dual_cndmask_b32 v1, v1, v2 :: v_dual_mov_b32 v2, 0
	ds_store_b32 v2, v1 offset:128
.LBB14_18:
	s_or_b32 exec_lo, exec_lo, s2
	s_waitcnt lgkmcnt(0)
	s_barrier
	buffer_gl0_inv
	s_mov_b32 s2, exec_lo
	v_cmpx_gt_i32_e64 s8, v0
	s_cbranch_execz .LBB14_37
; %bb.19:
	s_clause 0x1
	s_load_b128 s[4:7], s[0:1], 0x18
	s_load_b64 s[2:3], s[0:1], 0x0
	s_mul_i32 s15, s15, s8
	s_waitcnt lgkmcnt(0)
	s_load_b32 s6, s[6:7], 0x0
	s_mov_b32 s7, 0x43e00000
	s_waitcnt lgkmcnt(0)
	v_div_scale_f32 v1, null, s6, s6, 1.0
	v_div_scale_f32 v4, vcc_lo, 1.0, s6, 1.0
	s_delay_alu instid0(VALU_DEP_2) | instskip(SKIP_2) | instid1(VALU_DEP_1)
	v_rcp_f32_e32 v3, v1
	s_waitcnt_depctr 0xfff
	v_fma_f32 v2, -v1, v3, 1.0
	v_dual_fmac_f32 v3, v2, v3 :: v_dual_mov_b32 v2, 0
	s_delay_alu instid0(VALU_DEP_1) | instskip(NEXT) | instid1(VALU_DEP_1)
	v_mul_f32_e32 v6, v4, v3
	v_fma_f32 v5, -v1, v6, v4
	s_delay_alu instid0(VALU_DEP_1) | instskip(SKIP_2) | instid1(VALU_DEP_1)
	v_fmac_f32_e32 v6, v5, v3
	ds_load_b32 v5, v2 offset:128
	v_fma_f32 v1, -v1, v6, v4
	v_div_fmas_f32 v1, v1, v3, v6
	s_delay_alu instid0(VALU_DEP_1)
	v_div_fixup_f32 v6, v1, s6, 1.0
	s_mov_b32 s6, 0
	s_branch .LBB14_21
.LBB14_20:                              ;   in Loop: Header=BB14_21 Depth=1
	s_or_b32 exec_lo, exec_lo, s0
	v_add_nc_u32_e32 v1, s15, v0
	v_add_nc_u32_e32 v0, s11, v0
	global_store_b8 v1, v4, s[2:3]
	v_cmp_le_i32_e32 vcc_lo, s8, v0
	s_or_b32 s6, vcc_lo, s6
	s_delay_alu instid0(SALU_CYCLE_1)
	s_and_not1_b32 exec_lo, exec_lo, s6
	s_cbranch_execz .LBB14_37
.LBB14_21:                              ; =>This Inner Loop Header: Depth=1
	v_ashrrev_i32_e32 v1, 31, v0
	s_mov_b32 s0, exec_lo
	v_mov_b32_e32 v10, v2
	s_delay_alu instid0(VALU_DEP_2) | instskip(NEXT) | instid1(VALU_DEP_1)
	v_lshlrev_b64 v[3:4], 1, v[0:1]
	v_add_co_u32 v7, vcc_lo, s9, v3
	s_delay_alu instid0(VALU_DEP_2)
	v_add_co_ci_u32_e32 v8, vcc_lo, s10, v4, vcc_lo
	v_add_co_u32 v3, vcc_lo, s4, v3
	v_add_co_ci_u32_e32 v4, vcc_lo, s5, v4, vcc_lo
	global_load_u16 v1, v[7:8], off
	global_load_u16 v3, v[3:4], off
	s_waitcnt vmcnt(1) lgkmcnt(0)
	v_fma_mixlo_f16 v1, v5, v1, 0 op_sel_hi:[0,1,0]
	s_waitcnt vmcnt(0)
	s_delay_alu instid0(VALU_DEP_1) | instskip(NEXT) | instid1(VALU_DEP_1)
	v_mul_f16_e32 v1, v3, v1
	v_cvt_f32_f16_e32 v1, v1
	s_delay_alu instid0(VALU_DEP_1) | instskip(NEXT) | instid1(VALU_DEP_1)
	v_mul_f32_e32 v1, v6, v1
	v_minmax_f32 v3, v1, s7, 0xc3e00000
	s_delay_alu instid0(VALU_DEP_1) | instskip(SKIP_2) | instid1(VALU_DEP_3)
	v_lshrrev_b32_e32 v8, 24, v3
	v_and_b32_e32 v9, 0x7f800000, v3
	v_and_b32_e32 v1, 0x7fffff, v3
	;; [unrolled: 1-line block ×3, first 2 shown]
	s_delay_alu instid0(VALU_DEP_1) | instskip(NEXT) | instid1(VALU_DEP_4)
	v_or_b32_e32 v4, 0x7e, v7
	v_cmpx_ne_u64_e32 0x7f800000, v[9:10]
	s_xor_b32 s12, exec_lo, s0
	s_cbranch_execz .LBB14_35
; %bb.22:                               ;   in Loop: Header=BB14_21 Depth=1
	v_dual_mov_b32 v9, v2 :: v_dual_and_b32 v8, 0x7fffffff, v3
	s_mov_b32 s0, exec_lo
	s_delay_alu instid0(VALU_DEP_1)
	v_cmpx_gt_u64_e32 0x43e00001, v[8:9]
	s_xor_b32 s13, exec_lo, s0
	s_cbranch_execz .LBB14_34
; %bb.23:                               ;   in Loop: Header=BB14_21 Depth=1
	v_mov_b32_e32 v4, 0
	s_mov_b32 s14, exec_lo
	v_cmpx_ne_u32_e32 0, v3
	s_cbranch_execz .LBB14_33
; %bb.24:                               ;   in Loop: Header=BB14_21 Depth=1
	v_bfe_u32 v12, v3, 23, 8
	s_delay_alu instid0(VALU_DEP_1) | instskip(SKIP_2) | instid1(VALU_DEP_3)
	v_sub_nc_u32_e64 v3, 0x79, v12 clamp
	v_cmp_eq_u32_e32 vcc_lo, 0, v12
	v_add_nc_u32_e32 v12, 0xffffff88, v12
	v_cndmask_b32_e64 v13, v3, 0x78, vcc_lo
	v_or_b32_e32 v3, 0x800000, v1
	s_delay_alu instid0(VALU_DEP_2) | instskip(NEXT) | instid1(VALU_DEP_2)
	v_add_nc_u32_e32 v4, 20, v13
	v_cndmask_b32_e32 v1, v3, v1, vcc_lo
	v_add_nc_u32_e32 v8, 19, v13
	s_delay_alu instid0(VALU_DEP_3) | instskip(NEXT) | instid1(VALU_DEP_3)
	v_lshlrev_b64 v[3:4], v4, -1
	v_lshrrev_b64 v[10:11], v13, v[1:2]
	s_delay_alu instid0(VALU_DEP_2) | instskip(NEXT) | instid1(VALU_DEP_3)
	v_not_b32_e32 v9, v4
	v_not_b32_e32 v14, v3
	v_lshlrev_b64 v[3:4], v8, 1
	s_delay_alu instid0(VALU_DEP_3) | instskip(NEXT) | instid1(VALU_DEP_3)
	v_and_b32_e32 v9, 0, v9
	v_and_b32_e32 v8, v1, v14
	;; [unrolled: 1-line block ×3, first 2 shown]
	s_delay_alu instid0(VALU_DEP_2) | instskip(NEXT) | instid1(VALU_DEP_2)
	v_cmp_eq_u64_e64 s0, v[8:9], v[3:4]
	v_cmp_eq_u64_e64 s1, 0, v[1:2]
	v_cndmask_b32_e64 v1, v12, 0xffffff89, vcc_lo
	v_lshrrev_b32_e32 v3, 23, v10
	s_delay_alu instid0(VALU_DEP_3) | instskip(NEXT) | instid1(VALU_DEP_1)
	s_and_b32 vcc_lo, s1, s0
	v_add3_u32 v8, v1, v13, v3
	v_subrev_co_ci_u32_e32 v4, vcc_lo, 0, v10, vcc_lo
	s_mov_b32 s0, exec_lo
	s_delay_alu instid0(VALU_DEP_2) | instskip(NEXT) | instid1(VALU_DEP_2)
	v_add_nc_u32_e32 v9, -1, v8
	v_and_b32_e32 v1, 0xfffff, v4
	s_delay_alu instid0(VALU_DEP_1) | instskip(SKIP_1) | instid1(VALU_DEP_4)
	v_add_co_u32 v3, vcc_lo, v1, v10
	v_add_co_ci_u32_e32 v4, vcc_lo, 0, v11, vcc_lo
                                        ; implicit-def: $vgpr1
	v_cmpx_ne_u32_e32 0, v9
	s_xor_b32 s0, exec_lo, s0
; %bb.25:                               ;   in Loop: Header=BB14_21 Depth=1
	s_delay_alu instid0(VALU_DEP_3) | instskip(SKIP_1) | instid1(VALU_DEP_2)
	v_and_b32_e32 v1, 0x1000000, v3
	v_bfe_u32 v10, v3, 24, 1
	v_cmp_eq_u64_e32 vcc_lo, 0, v[1:2]
	s_delay_alu instid0(VALU_DEP_2)
	v_lshrrev_b64 v[3:4], v10, v[3:4]
	v_cndmask_b32_e32 v1, v8, v9, vcc_lo
; %bb.26:                               ;   in Loop: Header=BB14_21 Depth=1
	s_and_not1_saveexec_b32 s0, s0
; %bb.27:                               ;   in Loop: Header=BB14_21 Depth=1
	s_delay_alu instid0(VALU_DEP_2)
	v_bfe_u32 v1, v3, 23, 1
; %bb.28:                               ;   in Loop: Header=BB14_21 Depth=1
	s_or_b32 exec_lo, exec_lo, s0
	s_delay_alu instid0(VALU_DEP_3) | instskip(NEXT) | instid1(VALU_DEP_2)
	v_lshrrev_b64 v[3:4], 20, v[3:4]
	v_cmp_gt_i32_e32 vcc_lo, 16, v1
	v_cmp_ne_u32_e64 s0, 0, v1
	s_delay_alu instid0(VALU_DEP_3) | instskip(NEXT) | instid1(VALU_DEP_1)
	v_dual_cndmask_b32 v4, 0, v4 :: v_dual_cndmask_b32 v3, 7, v3
	v_cmp_ne_u64_e32 vcc_lo, 0, v[3:4]
                                        ; implicit-def: $vgpr4
	s_delay_alu instid0(VALU_DEP_3) | instskip(NEXT) | instid1(SALU_CYCLE_1)
	s_or_b32 s0, s0, vcc_lo
	s_and_saveexec_b32 s1, s0
	s_delay_alu instid0(SALU_CYCLE_1)
	s_xor_b32 s0, exec_lo, s1
; %bb.29:                               ;   in Loop: Header=BB14_21 Depth=1
	v_min_i32_e32 v1, 15, v1
	s_delay_alu instid0(VALU_DEP_1) | instskip(NEXT) | instid1(VALU_DEP_1)
	v_lshl_or_b32 v1, v1, 3, v7
                                        ; implicit-def: $vgpr7
	v_and_or_b32 v4, v3, 7, v1
; %bb.30:                               ;   in Loop: Header=BB14_21 Depth=1
	s_and_not1_saveexec_b32 s0, s0
; %bb.31:                               ;   in Loop: Header=BB14_21 Depth=1
	v_mov_b32_e32 v4, v7
; %bb.32:                               ;   in Loop: Header=BB14_21 Depth=1
	s_or_b32 exec_lo, exec_lo, s0
.LBB14_33:                              ;   in Loop: Header=BB14_21 Depth=1
	s_delay_alu instid0(SALU_CYCLE_1)
	s_or_b32 exec_lo, exec_lo, s14
.LBB14_34:                              ;   in Loop: Header=BB14_21 Depth=1
	s_and_not1_saveexec_b32 s0, s13
	s_delay_alu instid0(SALU_CYCLE_1)
	s_or_b32 exec_lo, exec_lo, s0
                                        ; implicit-def: $vgpr8
.LBB14_35:                              ;   in Loop: Header=BB14_21 Depth=1
	s_and_not1_saveexec_b32 s0, s12
	s_cbranch_execz .LBB14_20
; %bb.36:                               ;   in Loop: Header=BB14_21 Depth=1
	v_cmp_eq_u64_e32 vcc_lo, 0, v[1:2]
	v_or_b32_e32 v3, 0x7f, v8
	s_delay_alu instid0(VALU_DEP_1)
	v_cndmask_b32_e32 v4, v3, v4, vcc_lo
	s_branch .LBB14_20
.LBB14_37:
	s_nop 0
	s_sendmsg sendmsg(MSG_DEALLOC_VGPRS)
	s_endpgm
	.section	.rodata,"a",@progbits
	.p2align	6, 0x0
	.amdhsa_kernel _ZN4vllm32rms_norm_static_fp8_quant_kernelIN3c104HalfENS1_13Float8_e4m3fnELi1EEEvPT0_PKT_iS8_PKffii
		.amdhsa_group_segment_fixed_size 132
		.amdhsa_private_segment_fixed_size 0
		.amdhsa_kernarg_size 312
		.amdhsa_user_sgpr_count 15
		.amdhsa_user_sgpr_dispatch_ptr 0
		.amdhsa_user_sgpr_queue_ptr 0
		.amdhsa_user_sgpr_kernarg_segment_ptr 1
		.amdhsa_user_sgpr_dispatch_id 0
		.amdhsa_user_sgpr_private_segment_size 0
		.amdhsa_wavefront_size32 1
		.amdhsa_uses_dynamic_stack 0
		.amdhsa_enable_private_segment 0
		.amdhsa_system_sgpr_workgroup_id_x 1
		.amdhsa_system_sgpr_workgroup_id_y 0
		.amdhsa_system_sgpr_workgroup_id_z 0
		.amdhsa_system_sgpr_workgroup_info 0
		.amdhsa_system_vgpr_workitem_id 0
		.amdhsa_next_free_vgpr 15
		.amdhsa_next_free_sgpr 17
		.amdhsa_reserve_vcc 1
		.amdhsa_float_round_mode_32 0
		.amdhsa_float_round_mode_16_64 0
		.amdhsa_float_denorm_mode_32 3
		.amdhsa_float_denorm_mode_16_64 3
		.amdhsa_dx10_clamp 1
		.amdhsa_ieee_mode 1
		.amdhsa_fp16_overflow 0
		.amdhsa_workgroup_processor_mode 1
		.amdhsa_memory_ordered 1
		.amdhsa_forward_progress 0
		.amdhsa_shared_vgpr_count 0
		.amdhsa_exception_fp_ieee_invalid_op 0
		.amdhsa_exception_fp_denorm_src 0
		.amdhsa_exception_fp_ieee_div_zero 0
		.amdhsa_exception_fp_ieee_overflow 0
		.amdhsa_exception_fp_ieee_underflow 0
		.amdhsa_exception_fp_ieee_inexact 0
		.amdhsa_exception_int_div_zero 0
	.end_amdhsa_kernel
	.section	.text._ZN4vllm32rms_norm_static_fp8_quant_kernelIN3c104HalfENS1_13Float8_e4m3fnELi1EEEvPT0_PKT_iS8_PKffii,"axG",@progbits,_ZN4vllm32rms_norm_static_fp8_quant_kernelIN3c104HalfENS1_13Float8_e4m3fnELi1EEEvPT0_PKT_iS8_PKffii,comdat
.Lfunc_end14:
	.size	_ZN4vllm32rms_norm_static_fp8_quant_kernelIN3c104HalfENS1_13Float8_e4m3fnELi1EEEvPT0_PKT_iS8_PKffii, .Lfunc_end14-_ZN4vllm32rms_norm_static_fp8_quant_kernelIN3c104HalfENS1_13Float8_e4m3fnELi1EEEvPT0_PKT_iS8_PKffii
                                        ; -- End function
	.section	.AMDGPU.csdata,"",@progbits
; Kernel info:
; codeLenInByte = 2072
; NumSgprs: 19
; NumVgprs: 15
; ScratchSize: 0
; MemoryBound: 0
; FloatMode: 240
; IeeeMode: 1
; LDSByteSize: 132 bytes/workgroup (compile time only)
; SGPRBlocks: 2
; VGPRBlocks: 1
; NumSGPRsForWavesPerEU: 19
; NumVGPRsForWavesPerEU: 15
; Occupancy: 16
; WaveLimiterHint : 0
; COMPUTE_PGM_RSRC2:SCRATCH_EN: 0
; COMPUTE_PGM_RSRC2:USER_SGPR: 15
; COMPUTE_PGM_RSRC2:TRAP_HANDLER: 0
; COMPUTE_PGM_RSRC2:TGID_X_EN: 1
; COMPUTE_PGM_RSRC2:TGID_Y_EN: 0
; COMPUTE_PGM_RSRC2:TGID_Z_EN: 0
; COMPUTE_PGM_RSRC2:TIDIG_COMP_CNT: 0
	.section	.text._ZN4vllm32rms_norm_static_fp8_quant_kernelIN3c104HalfENS1_15Float8_e4m3fnuzELi16EEEvPT0_PKT_iS8_PKffii,"axG",@progbits,_ZN4vllm32rms_norm_static_fp8_quant_kernelIN3c104HalfENS1_15Float8_e4m3fnuzELi16EEEvPT0_PKT_iS8_PKffii,comdat
	.protected	_ZN4vllm32rms_norm_static_fp8_quant_kernelIN3c104HalfENS1_15Float8_e4m3fnuzELi16EEEvPT0_PKT_iS8_PKffii ; -- Begin function _ZN4vllm32rms_norm_static_fp8_quant_kernelIN3c104HalfENS1_15Float8_e4m3fnuzELi16EEEvPT0_PKT_iS8_PKffii
	.globl	_ZN4vllm32rms_norm_static_fp8_quant_kernelIN3c104HalfENS1_15Float8_e4m3fnuzELi16EEEvPT0_PKT_iS8_PKffii
	.p2align	8
	.type	_ZN4vllm32rms_norm_static_fp8_quant_kernelIN3c104HalfENS1_15Float8_e4m3fnuzELi16EEEvPT0_PKT_iS8_PKffii,@function
_ZN4vllm32rms_norm_static_fp8_quant_kernelIN3c104HalfENS1_15Float8_e4m3fnuzELi16EEEvPT0_PKT_iS8_PKffii: ; @_ZN4vllm32rms_norm_static_fp8_quant_kernelIN3c104HalfENS1_15Float8_e4m3fnuzELi16EEEvPT0_PKT_iS8_PKffii
; %bb.0:
	s_clause 0x3
	s_load_b32 s2, s[0:1], 0x10
	s_load_b64 s[4:5], s[0:1], 0x8
	s_load_b32 s8, s[0:1], 0x44
	s_load_b32 s13, s[0:1], 0x30
	s_mov_b32 s3, 0
	s_waitcnt lgkmcnt(0)
	s_mul_i32 s2, s15, s2
	s_delay_alu instid0(SALU_CYCLE_1) | instskip(NEXT) | instid1(SALU_CYCLE_1)
	s_lshl_b64 s[6:7], s[2:3], 1
	s_add_u32 s10, s4, s6
	s_addc_u32 s11, s5, s7
	s_and_b32 s2, s10, 31
	s_and_b32 s12, s8, 0xffff
	s_cmp_lg_u64 s[2:3], 0
	s_cselect_b32 s2, -1, 0
	s_and_b32 s3, s13, 15
	s_delay_alu instid0(SALU_CYCLE_1) | instskip(SKIP_1) | instid1(SALU_CYCLE_1)
	s_cmp_lg_u32 s3, 0
	s_cselect_b32 s3, -1, 0
	s_or_b32 s2, s2, s3
	s_delay_alu instid0(SALU_CYCLE_1)
	s_and_b32 vcc_lo, exec_lo, s2
	s_cbranch_vccz .LBB15_14
; %bb.1:
	s_sub_i32 s2, 0, s10
	v_mov_b32_e32 v4, 0
	s_bfe_u32 s2, s2, 0x40001
	s_mov_b32 s3, exec_lo
	s_min_i32 s8, s2, s13
	s_delay_alu instid0(SALU_CYCLE_1)
	v_cmpx_gt_i32_e64 s8, v0
	s_cbranch_execz .LBB15_5
; %bb.2:
	v_dual_mov_b32 v4, 0 :: v_dual_lshlrev_b32 v1, 1, v0
	s_add_u32 s2, s4, s6
	s_addc_u32 s9, s5, s7
	v_mov_b32_e32 v3, v0
	s_delay_alu instid0(VALU_DEP_2) | instskip(NEXT) | instid1(VALU_DEP_1)
	v_add_co_u32 v1, s2, s2, v1
	v_add_co_ci_u32_e64 v2, null, s9, 0, s2
	s_mov_b32 s9, 0
	s_lshl_b32 s14, s12, 1
.LBB15_3:                               ; =>This Inner Loop Header: Depth=1
	global_load_u16 v5, v[1:2], off
	v_add_nc_u32_e32 v3, s12, v3
	v_add_co_u32 v1, vcc_lo, v1, s14
	v_add_co_ci_u32_e32 v2, vcc_lo, 0, v2, vcc_lo
	s_delay_alu instid0(VALU_DEP_3) | instskip(NEXT) | instid1(VALU_DEP_1)
	v_cmp_le_i32_e64 s2, s8, v3
	s_or_b32 s9, s2, s9
	s_waitcnt vmcnt(0)
	v_fma_mix_f32 v4, v5, v5, v4 op_sel_hi:[1,1,0]
	s_and_not1_b32 exec_lo, exec_lo, s9
	s_cbranch_execnz .LBB15_3
; %bb.4:
	s_or_b32 exec_lo, exec_lo, s9
.LBB15_5:
	s_delay_alu instid0(SALU_CYCLE_1)
	s_or_b32 exec_lo, exec_lo, s3
	s_sub_i32 s3, s13, s8
	s_ashr_i32 s9, s8, 31
	s_ashr_i32 s2, s3, 31
	s_mov_b32 s16, exec_lo
	s_lshr_b32 s2, s2, 28
	s_delay_alu instid0(SALU_CYCLE_1) | instskip(NEXT) | instid1(SALU_CYCLE_1)
	s_add_i32 s2, s3, s2
	s_ashr_i32 s14, s2, 4
	s_delay_alu instid0(SALU_CYCLE_1)
	v_cmpx_gt_i32_e64 s14, v0
	s_cbranch_execz .LBB15_9
; %bb.6:
	v_lshlrev_b32_e32 v1, 5, v0
	s_lshl_b64 s[18:19], s[8:9], 1
	s_add_u32 s2, s4, s6
	s_addc_u32 s17, s5, s7
	s_add_u32 s2, s2, s18
	s_addc_u32 s17, s17, s19
	v_add_co_u32 v1, s2, s2, v1
	s_delay_alu instid0(VALU_DEP_1)
	v_add_co_ci_u32_e64 v2, null, s17, 0, s2
	v_mov_b32_e32 v3, v0
	s_mov_b32 s17, 0
	s_lshl_b32 s18, s12, 5
	s_set_inst_prefetch_distance 0x1
	.p2align	6
.LBB15_7:                               ; =>This Inner Loop Header: Depth=1
	s_clause 0x1
	global_load_b128 v[5:8], v[1:2], off
	global_load_b128 v[9:12], v[1:2], off offset:16
	v_add_nc_u32_e32 v3, s12, v3
	v_add_co_u32 v1, vcc_lo, v1, s18
	v_add_co_ci_u32_e32 v2, vcc_lo, 0, v2, vcc_lo
	s_delay_alu instid0(VALU_DEP_3) | instskip(NEXT) | instid1(VALU_DEP_1)
	v_cmp_le_i32_e64 s2, s14, v3
	s_or_b32 s17, s2, s17
	s_waitcnt vmcnt(1)
	v_fma_mix_f32 v4, v5, v5, v4 op_sel_hi:[1,1,0]
	s_delay_alu instid0(VALU_DEP_1) | instskip(NEXT) | instid1(VALU_DEP_1)
	v_fma_mix_f32 v4, v5, v5, v4 op_sel:[1,1,0] op_sel_hi:[1,1,0]
	v_fma_mix_f32 v4, v6, v6, v4 op_sel_hi:[1,1,0]
	s_delay_alu instid0(VALU_DEP_1) | instskip(NEXT) | instid1(VALU_DEP_1)
	v_fma_mix_f32 v4, v6, v6, v4 op_sel:[1,1,0] op_sel_hi:[1,1,0]
	;; [unrolled: 3-line block ×3, first 2 shown]
	v_fma_mix_f32 v4, v8, v8, v4 op_sel_hi:[1,1,0]
	s_delay_alu instid0(VALU_DEP_1) | instskip(SKIP_1) | instid1(VALU_DEP_1)
	v_fma_mix_f32 v4, v8, v8, v4 op_sel:[1,1,0] op_sel_hi:[1,1,0]
	s_waitcnt vmcnt(0)
	v_fma_mix_f32 v4, v9, v9, v4 op_sel_hi:[1,1,0]
	s_delay_alu instid0(VALU_DEP_1) | instskip(NEXT) | instid1(VALU_DEP_1)
	v_fma_mix_f32 v4, v9, v9, v4 op_sel:[1,1,0] op_sel_hi:[1,1,0]
	v_fma_mix_f32 v4, v10, v10, v4 op_sel_hi:[1,1,0]
	s_delay_alu instid0(VALU_DEP_1) | instskip(NEXT) | instid1(VALU_DEP_1)
	v_fma_mix_f32 v4, v10, v10, v4 op_sel:[1,1,0] op_sel_hi:[1,1,0]
	;; [unrolled: 3-line block ×3, first 2 shown]
	v_fma_mix_f32 v4, v12, v12, v4 op_sel_hi:[1,1,0]
	s_delay_alu instid0(VALU_DEP_1)
	v_fma_mix_f32 v4, v12, v12, v4 op_sel:[1,1,0] op_sel_hi:[1,1,0]
	s_and_not1_b32 exec_lo, exec_lo, s17
	s_cbranch_execnz .LBB15_7
; %bb.8:
	s_set_inst_prefetch_distance 0x2
	s_or_b32 exec_lo, exec_lo, s17
.LBB15_9:
	s_delay_alu instid0(SALU_CYCLE_1) | instskip(SKIP_2) | instid1(VALU_DEP_1)
	s_or_b32 exec_lo, exec_lo, s16
	v_lshl_add_u32 v1, s14, 4, v0
	s_mov_b32 s14, exec_lo
	v_cmpx_gt_i32_e64 s3, v1
	s_cbranch_execz .LBB15_13
; %bb.10:
	v_ashrrev_i32_e32 v2, 31, v1
	s_lshl_b64 s[8:9], s[8:9], 1
	s_add_u32 s2, s4, s6
	s_addc_u32 s16, s5, s7
	s_add_u32 s2, s2, s8
	v_lshlrev_b64 v[2:3], 1, v[1:2]
	s_addc_u32 s8, s16, s9
	s_lshl_b32 s9, s12, 1
	s_delay_alu instid0(VALU_DEP_1) | instskip(NEXT) | instid1(VALU_DEP_2)
	v_add_co_u32 v2, vcc_lo, s2, v2
	v_add_co_ci_u32_e32 v3, vcc_lo, s8, v3, vcc_lo
	s_mov_b32 s8, 0
.LBB15_11:                              ; =>This Inner Loop Header: Depth=1
	global_load_u16 v5, v[2:3], off
	v_add_nc_u32_e32 v1, s12, v1
	v_add_co_u32 v2, vcc_lo, v2, s9
	v_add_co_ci_u32_e32 v3, vcc_lo, 0, v3, vcc_lo
	s_delay_alu instid0(VALU_DEP_3) | instskip(NEXT) | instid1(VALU_DEP_1)
	v_cmp_le_i32_e64 s2, s3, v1
	s_or_b32 s8, s2, s8
	s_waitcnt vmcnt(0)
	v_fma_mix_f32 v4, v5, v5, v4 op_sel_hi:[1,1,0]
	s_and_not1_b32 exec_lo, exec_lo, s8
	s_cbranch_execnz .LBB15_11
; %bb.12:
	s_or_b32 exec_lo, exec_lo, s8
.LBB15_13:
	s_delay_alu instid0(SALU_CYCLE_1)
	s_or_b32 exec_lo, exec_lo, s14
	s_branch .LBB15_20
.LBB15_14:
                                        ; implicit-def: $vgpr4
	s_cbranch_execz .LBB15_20
; %bb.15:
	v_mov_b32_e32 v4, 0
	s_ashr_i32 s8, s13, 4
	s_mov_b32 s3, exec_lo
	v_cmpx_gt_i32_e64 s8, v0
	s_cbranch_execz .LBB15_19
; %bb.16:
	v_dual_mov_b32 v4, 0 :: v_dual_lshlrev_b32 v1, 5, v0
	s_add_u32 s2, s4, s6
	s_addc_u32 s4, s5, s7
	v_mov_b32_e32 v3, v0
	s_delay_alu instid0(VALU_DEP_2) | instskip(NEXT) | instid1(VALU_DEP_1)
	v_add_co_u32 v1, s2, s2, v1
	v_add_co_ci_u32_e64 v2, null, s4, 0, s2
	s_mov_b32 s4, 0
	s_lshl_b32 s5, s12, 5
	s_set_inst_prefetch_distance 0x1
	.p2align	6
.LBB15_17:                              ; =>This Inner Loop Header: Depth=1
	s_clause 0x1
	global_load_b128 v[5:8], v[1:2], off
	global_load_b128 v[9:12], v[1:2], off offset:16
	v_add_nc_u32_e32 v3, s12, v3
	v_add_co_u32 v1, vcc_lo, v1, s5
	v_add_co_ci_u32_e32 v2, vcc_lo, 0, v2, vcc_lo
	s_delay_alu instid0(VALU_DEP_3) | instskip(NEXT) | instid1(VALU_DEP_1)
	v_cmp_le_i32_e64 s2, s8, v3
	s_or_b32 s4, s2, s4
	s_waitcnt vmcnt(1)
	v_fma_mix_f32 v4, v5, v5, v4 op_sel_hi:[1,1,0]
	s_delay_alu instid0(VALU_DEP_1) | instskip(NEXT) | instid1(VALU_DEP_1)
	v_fma_mix_f32 v4, v5, v5, v4 op_sel:[1,1,0] op_sel_hi:[1,1,0]
	v_fma_mix_f32 v4, v6, v6, v4 op_sel_hi:[1,1,0]
	s_delay_alu instid0(VALU_DEP_1) | instskip(NEXT) | instid1(VALU_DEP_1)
	v_fma_mix_f32 v4, v6, v6, v4 op_sel:[1,1,0] op_sel_hi:[1,1,0]
	;; [unrolled: 3-line block ×3, first 2 shown]
	v_fma_mix_f32 v4, v8, v8, v4 op_sel_hi:[1,1,0]
	s_delay_alu instid0(VALU_DEP_1) | instskip(SKIP_1) | instid1(VALU_DEP_1)
	v_fma_mix_f32 v4, v8, v8, v4 op_sel:[1,1,0] op_sel_hi:[1,1,0]
	s_waitcnt vmcnt(0)
	v_fma_mix_f32 v4, v9, v9, v4 op_sel_hi:[1,1,0]
	s_delay_alu instid0(VALU_DEP_1) | instskip(NEXT) | instid1(VALU_DEP_1)
	v_fma_mix_f32 v4, v9, v9, v4 op_sel:[1,1,0] op_sel_hi:[1,1,0]
	v_fma_mix_f32 v4, v10, v10, v4 op_sel_hi:[1,1,0]
	s_delay_alu instid0(VALU_DEP_1) | instskip(NEXT) | instid1(VALU_DEP_1)
	v_fma_mix_f32 v4, v10, v10, v4 op_sel:[1,1,0] op_sel_hi:[1,1,0]
	;; [unrolled: 3-line block ×3, first 2 shown]
	v_fma_mix_f32 v4, v12, v12, v4 op_sel_hi:[1,1,0]
	s_delay_alu instid0(VALU_DEP_1)
	v_fma_mix_f32 v4, v12, v12, v4 op_sel:[1,1,0] op_sel_hi:[1,1,0]
	s_and_not1_b32 exec_lo, exec_lo, s4
	s_cbranch_execnz .LBB15_17
; %bb.18:
	s_set_inst_prefetch_distance 0x2
	s_or_b32 exec_lo, exec_lo, s4
.LBB15_19:
	s_delay_alu instid0(SALU_CYCLE_1)
	s_or_b32 exec_lo, exec_lo, s3
.LBB15_20:
	v_mbcnt_lo_u32_b32 v1, -1, 0
	v_and_b32_e32 v3, 0x3e0, v0
	s_mov_b32 s2, exec_lo
	s_delay_alu instid0(VALU_DEP_2) | instskip(NEXT) | instid1(VALU_DEP_2)
	v_cmp_ne_u32_e32 vcc_lo, 31, v1
	v_sub_nc_u32_e64 v12, s12, v3 clamp
	v_add_nc_u32_e32 v3, 1, v1
	v_add_co_ci_u32_e32 v2, vcc_lo, 0, v1, vcc_lo
	v_cmp_gt_u32_e32 vcc_lo, 30, v1
	s_delay_alu instid0(VALU_DEP_2)
	v_lshlrev_b32_e32 v2, 2, v2
	v_cndmask_b32_e64 v6, 0, 1, vcc_lo
	v_cmp_lt_u32_e32 vcc_lo, v3, v12
	ds_bpermute_b32 v5, v2, v4
	s_waitcnt lgkmcnt(0)
	v_dual_add_f32 v7, v4, v5 :: v_dual_lshlrev_b32 v6, 1, v6
	s_delay_alu instid0(VALU_DEP_1) | instskip(NEXT) | instid1(VALU_DEP_2)
	v_cndmask_b32_e32 v7, v4, v7, vcc_lo
	v_add_lshl_u32 v5, v6, v1, 2
	v_cmp_gt_u32_e32 vcc_lo, 28, v1
	ds_bpermute_b32 v6, v5, v7
	v_cndmask_b32_e64 v4, 0, 1, vcc_lo
	s_delay_alu instid0(VALU_DEP_1) | instskip(SKIP_1) | instid1(VALU_DEP_1)
	v_lshlrev_b32_e32 v8, 2, v4
	v_add_nc_u32_e32 v4, 2, v1
	v_cmp_lt_u32_e32 vcc_lo, v4, v12
	s_waitcnt lgkmcnt(0)
	v_add_f32_e32 v9, v7, v6
	v_add_lshl_u32 v6, v8, v1, 2
	s_delay_alu instid0(VALU_DEP_2) | instskip(SKIP_2) | instid1(VALU_DEP_1)
	v_cndmask_b32_e32 v9, v7, v9, vcc_lo
	v_cmp_gt_u32_e32 vcc_lo, 24, v1
	v_cndmask_b32_e64 v7, 0, 1, vcc_lo
	v_lshlrev_b32_e32 v10, 3, v7
	ds_bpermute_b32 v8, v6, v9
	v_add_nc_u32_e32 v7, 4, v1
	s_delay_alu instid0(VALU_DEP_1) | instskip(SKIP_3) | instid1(VALU_DEP_2)
	v_cmp_lt_u32_e32 vcc_lo, v7, v12
	s_waitcnt lgkmcnt(0)
	v_add_f32_e32 v11, v9, v8
	v_add_lshl_u32 v8, v10, v1, 2
	v_cndmask_b32_e32 v11, v9, v11, vcc_lo
	v_cmp_gt_u32_e32 vcc_lo, 16, v1
	ds_bpermute_b32 v10, v8, v11
	v_cndmask_b32_e64 v9, 0, 1, vcc_lo
	s_delay_alu instid0(VALU_DEP_1) | instskip(SKIP_1) | instid1(VALU_DEP_1)
	v_lshlrev_b32_e32 v13, 4, v9
	v_add_nc_u32_e32 v9, 8, v1
	v_cmp_lt_u32_e32 vcc_lo, v9, v12
	s_waitcnt lgkmcnt(0)
	v_add_f32_e32 v14, v11, v10
	v_add_lshl_u32 v10, v13, v1, 2
	s_delay_alu instid0(VALU_DEP_2)
	v_cndmask_b32_e32 v13, v11, v14, vcc_lo
	v_add_nc_u32_e32 v11, 16, v1
	ds_bpermute_b32 v14, v10, v13
	v_cmp_lt_u32_e32 vcc_lo, v11, v12
	s_waitcnt lgkmcnt(0)
	v_add_f32_e32 v14, v13, v14
	s_delay_alu instid0(VALU_DEP_1)
	v_cndmask_b32_e32 v12, v13, v14, vcc_lo
	v_cmpx_eq_u32_e32 0, v1
	s_cbranch_execz .LBB15_22
; %bb.21:
	v_lshrrev_b32_e32 v13, 3, v0
	s_delay_alu instid0(VALU_DEP_1)
	v_and_b32_e32 v13, 0x7c, v13
	ds_store_b32 v13, v12
.LBB15_22:
	s_or_b32 exec_lo, exec_lo, s2
	s_delay_alu instid0(SALU_CYCLE_1)
	s_mov_b32 s2, exec_lo
	s_waitcnt lgkmcnt(0)
	s_barrier
	buffer_gl0_inv
	v_cmpx_gt_u32_e32 32, v0
	s_cbranch_execz .LBB15_24
; %bb.23:
	v_lshlrev_b32_e32 v1, 2, v1
	s_add_i32 s3, s12, 31
	s_delay_alu instid0(SALU_CYCLE_1) | instskip(NEXT) | instid1(SALU_CYCLE_1)
	s_lshr_b32 s3, s3, 5
	v_cmp_gt_u32_e32 vcc_lo, s3, v3
	ds_load_b32 v1, v1
	s_waitcnt lgkmcnt(0)
	ds_bpermute_b32 v2, v2, v1
	s_waitcnt lgkmcnt(0)
	v_add_f32_e32 v2, v1, v2
	s_delay_alu instid0(VALU_DEP_1) | instskip(SKIP_4) | instid1(VALU_DEP_1)
	v_cndmask_b32_e32 v1, v1, v2, vcc_lo
	v_cmp_gt_u32_e32 vcc_lo, s3, v4
	ds_bpermute_b32 v2, v5, v1
	s_waitcnt lgkmcnt(0)
	v_add_f32_e32 v2, v1, v2
	v_cndmask_b32_e32 v1, v1, v2, vcc_lo
	v_cmp_gt_u32_e32 vcc_lo, s3, v7
	ds_bpermute_b32 v2, v6, v1
	s_waitcnt lgkmcnt(0)
	v_add_f32_e32 v2, v1, v2
	s_delay_alu instid0(VALU_DEP_1) | instskip(SKIP_4) | instid1(VALU_DEP_1)
	v_cndmask_b32_e32 v1, v1, v2, vcc_lo
	v_cmp_gt_u32_e32 vcc_lo, s3, v9
	ds_bpermute_b32 v2, v8, v1
	s_waitcnt lgkmcnt(0)
	v_add_f32_e32 v2, v1, v2
	v_cndmask_b32_e32 v1, v1, v2, vcc_lo
	v_cmp_gt_u32_e32 vcc_lo, s3, v11
	ds_bpermute_b32 v2, v10, v1
	s_waitcnt lgkmcnt(0)
	v_add_f32_e32 v2, v1, v2
	s_delay_alu instid0(VALU_DEP_1)
	v_cndmask_b32_e32 v12, v1, v2, vcc_lo
.LBB15_24:
	s_or_b32 exec_lo, exec_lo, s2
	s_delay_alu instid0(SALU_CYCLE_1)
	s_mov_b32 s2, exec_lo
	v_cmpx_eq_u32_e32 0, v0
	s_cbranch_execz .LBB15_26
; %bb.25:
	v_cvt_f32_i32_e32 v1, s13
	s_load_b32 s3, s[0:1], 0x28
	s_delay_alu instid0(VALU_DEP_1) | instskip(SKIP_1) | instid1(VALU_DEP_2)
	v_div_scale_f32 v2, null, v1, v1, v12
	v_div_scale_f32 v5, vcc_lo, v12, v1, v12
	v_rcp_f32_e32 v3, v2
	s_waitcnt_depctr 0xfff
	v_fma_f32 v4, -v2, v3, 1.0
	s_delay_alu instid0(VALU_DEP_1) | instskip(NEXT) | instid1(VALU_DEP_1)
	v_fmac_f32_e32 v3, v4, v3
	v_mul_f32_e32 v4, v5, v3
	s_delay_alu instid0(VALU_DEP_1) | instskip(NEXT) | instid1(VALU_DEP_1)
	v_fma_f32 v6, -v2, v4, v5
	v_fmac_f32_e32 v4, v6, v3
	s_delay_alu instid0(VALU_DEP_1) | instskip(NEXT) | instid1(VALU_DEP_1)
	v_fma_f32 v2, -v2, v4, v5
	v_div_fmas_f32 v2, v2, v3, v4
	s_delay_alu instid0(VALU_DEP_1) | instskip(SKIP_1) | instid1(VALU_DEP_1)
	v_div_fixup_f32 v1, v2, v1, v12
	s_waitcnt lgkmcnt(0)
	v_add_f32_e32 v1, s3, v1
	s_delay_alu instid0(VALU_DEP_1) | instskip(SKIP_1) | instid1(VALU_DEP_2)
	v_mul_f32_e32 v2, 0x4b800000, v1
	v_cmp_gt_f32_e32 vcc_lo, 0x800000, v1
	v_cndmask_b32_e32 v1, v1, v2, vcc_lo
	s_delay_alu instid0(VALU_DEP_1) | instskip(SKIP_2) | instid1(VALU_DEP_1)
	v_rsq_f32_e32 v1, v1
	s_waitcnt_depctr 0xfff
	v_mul_f32_e32 v2, 0x45800000, v1
	v_dual_cndmask_b32 v1, v1, v2 :: v_dual_mov_b32 v2, 0
	ds_store_b32 v2, v1 offset:128
.LBB15_26:
	s_or_b32 exec_lo, exec_lo, s2
	s_ashr_i32 s2, s13, 31
	s_waitcnt lgkmcnt(0)
	s_lshr_b32 s2, s2, 28
	s_barrier
	s_add_i32 s2, s13, s2
	buffer_gl0_inv
	s_ashr_i32 s8, s2, 4
	s_mov_b32 s2, exec_lo
	v_cmpx_gt_i32_e64 s8, v0
	s_cbranch_execz .LBB15_189
; %bb.27:
	s_clause 0x1
	s_load_b128 s[4:7], s[0:1], 0x18
	s_load_b64 s[2:3], s[0:1], 0x0
	s_mul_i32 s15, s15, s13
	s_lshl_b32 s9, s12, 5
	v_lshl_add_u32 v22, v0, 4, s15
	s_mov_b32 s13, 0x43600000
	v_mov_b32_e32 v18, 0
	v_lshlrev_b32_e32 v24, 5, v0
	ds_load_b32 v21, v18 offset:128
	s_waitcnt lgkmcnt(0)
	s_load_b32 s7, s[6:7], 0x0
	s_lshl_b32 s6, s12, 4
	s_waitcnt lgkmcnt(0)
	v_div_scale_f32 v1, null, s7, s7, 1.0
	v_div_scale_f32 v4, vcc_lo, 1.0, s7, 1.0
	s_delay_alu instid0(VALU_DEP_2) | instskip(SKIP_2) | instid1(VALU_DEP_1)
	v_rcp_f32_e32 v2, v1
	s_waitcnt_depctr 0xfff
	v_fma_f32 v3, -v1, v2, 1.0
	v_fmac_f32_e32 v2, v3, v2
	s_delay_alu instid0(VALU_DEP_1) | instskip(NEXT) | instid1(VALU_DEP_1)
	v_mul_f32_e32 v3, v4, v2
	v_fma_f32 v5, -v1, v3, v4
	s_delay_alu instid0(VALU_DEP_1) | instskip(NEXT) | instid1(VALU_DEP_1)
	v_fmac_f32_e32 v3, v5, v2
	v_fma_f32 v1, -v1, v3, v4
	s_delay_alu instid0(VALU_DEP_1) | instskip(NEXT) | instid1(VALU_DEP_1)
	v_div_fmas_f32 v1, v1, v2, v3
	v_div_fixup_f32 v23, v1, s7, 1.0
	s_mov_b32 s7, 0
	s_branch .LBB15_32
.LBB15_28:                              ;   in Loop: Header=BB15_32 Depth=1
	s_or_b32 exec_lo, exec_lo, s0
	s_delay_alu instid0(VALU_DEP_2) | instskip(NEXT) | instid1(VALU_DEP_2)
	v_lshrrev_b64 v[1:2], 20, v[1:2]
	v_cmp_gt_i32_e32 vcc_lo, 16, v4
	v_and_b32_e32 v3, 0x80, v3
	v_min_i32_e32 v5, 15, v4
	v_cmp_eq_u32_e64 s0, 0, v4
	v_dual_cndmask_b32 v2, 0, v2 :: v_dual_cndmask_b32 v1, 7, v1
	s_delay_alu instid0(VALU_DEP_3) | instskip(NEXT) | instid1(VALU_DEP_2)
	v_lshl_or_b32 v3, v5, 3, v3
	v_cmp_eq_u64_e32 vcc_lo, 0, v[1:2]
	s_delay_alu instid0(VALU_DEP_2)
	v_and_or_b32 v1, v1, 7, v3
	s_and_b32 s0, s0, vcc_lo
	s_delay_alu instid0(VALU_DEP_1) | instid1(SALU_CYCLE_1)
	v_cndmask_b32_e64 v1, v1, 0, s0
.LBB15_29:                              ;   in Loop: Header=BB15_32 Depth=1
	s_or_b32 exec_lo, exec_lo, s16
.LBB15_30:                              ;   in Loop: Header=BB15_32 Depth=1
	s_and_not1_saveexec_b32 s0, s15
	s_delay_alu instid0(SALU_CYCLE_1)
	s_or_b32 exec_lo, exec_lo, s0
.LBB15_31:                              ;   in Loop: Header=BB15_32 Depth=1
	s_and_not1_saveexec_b32 s0, s14
	s_delay_alu instid0(SALU_CYCLE_1)
	s_or_b32 exec_lo, exec_lo, s0
	v_add_nc_u32_e32 v0, s12, v0
	s_add_u32 s4, s4, s9
	v_add_nc_u32_e32 v2, 15, v22
	v_add_nc_u32_e32 v22, s6, v22
	s_addc_u32 s5, s5, 0
	v_cmp_le_i32_e32 vcc_lo, s8, v0
	s_add_u32 s10, s10, s9
	s_addc_u32 s11, s11, 0
	global_store_b8 v2, v1, s[2:3]
	s_or_b32 s7, vcc_lo, s7
	s_delay_alu instid0(SALU_CYCLE_1)
	s_and_not1_b32 exec_lo, exec_lo, s7
	s_cbranch_execz .LBB15_189
.LBB15_32:                              ; =>This Inner Loop Header: Depth=1
	v_add_co_u32 v1, s0, s10, v24
	s_delay_alu instid0(VALU_DEP_1) | instskip(SKIP_1) | instid1(VALU_DEP_1)
	v_add_co_ci_u32_e64 v2, null, s11, 0, s0
	v_add_co_u32 v5, s0, s4, v24
	v_add_co_ci_u32_e64 v6, null, s5, 0, s0
	global_load_b128 v[9:12], v[1:2], off
	global_load_b128 v[13:16], v[5:6], off
	global_load_b128 v[1:4], v[1:2], off offset:16
	global_load_b128 v[5:8], v[5:6], off offset:16
	s_mov_b32 s0, exec_lo
	s_waitcnt vmcnt(3)
	v_fma_mixlo_f16 v17, v21, v9, 0 op_sel_hi:[0,1,0]
	s_waitcnt vmcnt(2)
	s_delay_alu instid0(VALU_DEP_1) | instskip(NEXT) | instid1(VALU_DEP_1)
	v_mul_f16_e32 v17, v13, v17
	v_cvt_f32_f16_e32 v17, v17
	s_delay_alu instid0(VALU_DEP_1) | instskip(NEXT) | instid1(VALU_DEP_1)
	v_mul_f32_e32 v17, v23, v17
	v_minmax_f32 v20, v17, s13, 0xc3600000
	s_delay_alu instid0(VALU_DEP_1) | instskip(SKIP_1) | instid1(VALU_DEP_2)
	v_lshrrev_b32_e32 v25, 24, v20
	v_and_b32_e32 v17, 0x7f800000, v20
	v_or_b32_e32 v19, 0x7f, v25
	s_delay_alu instid0(VALU_DEP_2)
	v_cmpx_ne_u64_e32 0x7f800000, v[17:18]
	s_xor_b32 s14, exec_lo, s0
	s_cbranch_execz .LBB15_42
; %bb.33:                               ;   in Loop: Header=BB15_32 Depth=1
	v_and_b32_e32 v17, 0x7fffffff, v20
	s_mov_b32 s0, exec_lo
	s_delay_alu instid0(VALU_DEP_1)
	v_cmpx_gt_u64_e32 0x43700001, v[17:18]
	s_xor_b32 s15, exec_lo, s0
	s_cbranch_execz .LBB15_41
; %bb.34:                               ;   in Loop: Header=BB15_32 Depth=1
	v_mov_b32_e32 v19, 0
	s_mov_b32 s16, exec_lo
	v_cmpx_ne_u32_e32 0, v20
	s_cbranch_execz .LBB15_40
; %bb.35:                               ;   in Loop: Header=BB15_32 Depth=1
	v_bfe_u32 v30, v20, 23, 8
	v_and_b32_e32 v19, 0x7fffff, v20
	s_delay_alu instid0(VALU_DEP_2) | instskip(SKIP_2) | instid1(VALU_DEP_3)
	v_sub_nc_u32_e64 v17, 0x78, v30 clamp
	v_cmp_eq_u32_e32 vcc_lo, 0, v30
	v_add_nc_u32_e32 v30, 0xffffff89, v30
	v_cndmask_b32_e64 v31, v17, 0x77, vcc_lo
	v_or_b32_e32 v17, 0x800000, v19
	s_delay_alu instid0(VALU_DEP_2) | instskip(NEXT) | instid1(VALU_DEP_2)
	v_add_nc_u32_e32 v20, 20, v31
	v_cndmask_b32_e32 v17, v17, v19, vcc_lo
	v_add_nc_u32_e32 v26, 19, v31
	s_delay_alu instid0(VALU_DEP_3) | instskip(NEXT) | instid1(VALU_DEP_3)
	v_lshlrev_b64 v[19:20], v20, -1
	v_lshrrev_b64 v[28:29], v31, v[17:18]
	s_delay_alu instid0(VALU_DEP_3) | instskip(SKIP_1) | instid1(VALU_DEP_4)
	v_lshlrev_b64 v[26:27], v26, 1
	v_mov_b32_e32 v20, v18
	v_not_b32_e32 v19, v19
	s_delay_alu instid0(VALU_DEP_1) | instskip(SKIP_1) | instid1(VALU_DEP_2)
	v_and_b32_e32 v19, v17, v19
	v_and_b32_e32 v17, 0x100000, v28
	v_cmp_eq_u64_e64 s0, v[19:20], v[26:27]
	s_delay_alu instid0(VALU_DEP_2) | instskip(SKIP_2) | instid1(VALU_DEP_3)
	v_cmp_eq_u64_e64 s1, 0, v[17:18]
	v_cndmask_b32_e64 v17, v30, 0xffffff8a, vcc_lo
	v_lshrrev_b32_e32 v19, 23, v28
	s_and_b32 vcc_lo, s1, s0
	s_delay_alu instid0(VALU_DEP_1) | instskip(SKIP_2) | instid1(VALU_DEP_2)
	v_add3_u32 v26, v17, v31, v19
	v_subrev_co_ci_u32_e32 v20, vcc_lo, 0, v28, vcc_lo
	s_mov_b32 s0, exec_lo
	v_add_nc_u32_e32 v27, -1, v26
	s_delay_alu instid0(VALU_DEP_2) | instskip(NEXT) | instid1(VALU_DEP_1)
	v_and_b32_e32 v17, 0xfffff, v20
	v_add_co_u32 v19, vcc_lo, v17, v28
	v_add_co_ci_u32_e32 v20, vcc_lo, 0, v29, vcc_lo
                                        ; implicit-def: $vgpr17
	s_delay_alu instid0(VALU_DEP_4)
	v_cmpx_ne_u32_e32 0, v27
	s_xor_b32 s0, exec_lo, s0
; %bb.36:                               ;   in Loop: Header=BB15_32 Depth=1
	s_delay_alu instid0(VALU_DEP_3) | instskip(SKIP_1) | instid1(VALU_DEP_2)
	v_and_b32_e32 v17, 0x1000000, v19
	v_bfe_u32 v28, v19, 24, 1
	v_cmp_eq_u64_e32 vcc_lo, 0, v[17:18]
	s_delay_alu instid0(VALU_DEP_2)
	v_lshrrev_b64 v[19:20], v28, v[19:20]
	v_cndmask_b32_e32 v17, v26, v27, vcc_lo
; %bb.37:                               ;   in Loop: Header=BB15_32 Depth=1
	s_and_not1_saveexec_b32 s0, s0
; %bb.38:                               ;   in Loop: Header=BB15_32 Depth=1
	s_delay_alu instid0(VALU_DEP_2)
	v_bfe_u32 v17, v19, 23, 1
; %bb.39:                               ;   in Loop: Header=BB15_32 Depth=1
	s_or_b32 exec_lo, exec_lo, s0
	s_delay_alu instid0(VALU_DEP_3) | instskip(NEXT) | instid1(VALU_DEP_2)
	v_lshrrev_b64 v[19:20], 20, v[19:20]
	v_cmp_gt_i32_e32 vcc_lo, 16, v17
	v_and_b32_e32 v25, 0x80, v25
	v_min_i32_e32 v26, 15, v17
	v_cmp_eq_u32_e64 s0, 0, v17
	v_dual_cndmask_b32 v20, 0, v20 :: v_dual_cndmask_b32 v19, 7, v19
	s_delay_alu instid0(VALU_DEP_3) | instskip(NEXT) | instid1(VALU_DEP_2)
	v_lshl_or_b32 v25, v26, 3, v25
	v_cmp_eq_u64_e32 vcc_lo, 0, v[19:20]
	s_delay_alu instid0(VALU_DEP_2)
	v_and_or_b32 v17, v19, 7, v25
	s_and_b32 s0, s0, vcc_lo
	s_delay_alu instid0(VALU_DEP_1) | instid1(SALU_CYCLE_1)
	v_cndmask_b32_e64 v19, v17, 0, s0
.LBB15_40:                              ;   in Loop: Header=BB15_32 Depth=1
	s_or_b32 exec_lo, exec_lo, s16
.LBB15_41:                              ;   in Loop: Header=BB15_32 Depth=1
	s_and_not1_saveexec_b32 s0, s15
	s_delay_alu instid0(SALU_CYCLE_1)
	s_or_b32 exec_lo, exec_lo, s0
.LBB15_42:                              ;   in Loop: Header=BB15_32 Depth=1
	s_and_not1_saveexec_b32 s0, s14
	s_delay_alu instid0(SALU_CYCLE_1)
	s_or_b32 exec_lo, exec_lo, s0
	v_lshrrev_b32_e32 v13, 16, v13
	v_fma_mixlo_f16 v9, v21, v9, 0 op_sel:[0,1,0] op_sel_hi:[0,1,0]
	global_store_b8 v22, v19, s[2:3]
	s_mov_b32 s0, exec_lo
	v_mul_f16_e32 v9, v13, v9
	s_delay_alu instid0(VALU_DEP_1) | instskip(NEXT) | instid1(VALU_DEP_1)
	v_cvt_f32_f16_e32 v9, v9
	v_mul_f32_e32 v9, v23, v9
	s_delay_alu instid0(VALU_DEP_1) | instskip(NEXT) | instid1(VALU_DEP_1)
	v_minmax_f32 v20, v9, s13, 0xc3600000
	v_lshrrev_b32_e32 v9, 24, v20
	v_and_b32_e32 v17, 0x7f800000, v20
	s_delay_alu instid0(VALU_DEP_2) | instskip(NEXT) | instid1(VALU_DEP_2)
	v_or_b32_e32 v13, 0x7f, v9
	v_cmpx_ne_u64_e32 0x7f800000, v[17:18]
	s_xor_b32 s14, exec_lo, s0
	s_cbranch_execz .LBB15_52
; %bb.43:                               ;   in Loop: Header=BB15_32 Depth=1
	v_and_b32_e32 v17, 0x7fffffff, v20
	s_mov_b32 s0, exec_lo
	s_delay_alu instid0(VALU_DEP_1)
	v_cmpx_gt_u64_e32 0x43700001, v[17:18]
	s_xor_b32 s15, exec_lo, s0
	s_cbranch_execz .LBB15_51
; %bb.44:                               ;   in Loop: Header=BB15_32 Depth=1
	v_mov_b32_e32 v13, 0
	s_mov_b32 s16, exec_lo
	v_cmpx_ne_u32_e32 0, v20
	s_cbranch_execz .LBB15_50
; %bb.45:                               ;   in Loop: Header=BB15_32 Depth=1
	v_bfe_u32 v13, v20, 23, 8
	v_and_b32_e32 v19, 0x7fffff, v20
	s_delay_alu instid0(VALU_DEP_2) | instskip(SKIP_2) | instid1(VALU_DEP_3)
	v_sub_nc_u32_e64 v17, 0x78, v13 clamp
	v_cmp_eq_u32_e32 vcc_lo, 0, v13
	v_add_nc_u32_e32 v13, 0xffffff89, v13
	v_cndmask_b32_e64 v29, v17, 0x77, vcc_lo
	v_or_b32_e32 v17, 0x800000, v19
	s_delay_alu instid0(VALU_DEP_3) | instskip(NEXT) | instid1(VALU_DEP_2)
	v_cndmask_b32_e64 v13, v13, 0xffffff8a, vcc_lo
	v_dual_cndmask_b32 v17, v17, v19 :: v_dual_add_nc_u32 v20, 20, v29
	v_add_nc_u32_e32 v25, 19, v29
	s_delay_alu instid0(VALU_DEP_2) | instskip(NEXT) | instid1(VALU_DEP_3)
	v_lshlrev_b64 v[19:20], v20, -1
	v_lshrrev_b64 v[27:28], v29, v[17:18]
	s_delay_alu instid0(VALU_DEP_3) | instskip(SKIP_1) | instid1(VALU_DEP_4)
	v_lshlrev_b64 v[25:26], v25, 1
	v_mov_b32_e32 v20, v18
	v_not_b32_e32 v19, v19
	s_delay_alu instid0(VALU_DEP_1) | instskip(SKIP_1) | instid1(VALU_DEP_2)
	v_and_b32_e32 v19, v17, v19
	v_and_b32_e32 v17, 0x100000, v27
	v_cmp_eq_u64_e64 s0, v[19:20], v[25:26]
	s_delay_alu instid0(VALU_DEP_2) | instskip(SKIP_1) | instid1(VALU_DEP_1)
	v_cmp_eq_u64_e64 s1, 0, v[17:18]
	v_lshrrev_b32_e32 v17, 23, v27
	v_add3_u32 v25, v13, v29, v17
	s_delay_alu instid0(VALU_DEP_3) | instskip(SKIP_2) | instid1(VALU_DEP_2)
	s_and_b32 vcc_lo, s1, s0
	s_mov_b32 s0, exec_lo
	v_subrev_co_ci_u32_e32 v19, vcc_lo, 0, v27, vcc_lo
	v_add_nc_u32_e32 v26, -1, v25
	s_delay_alu instid0(VALU_DEP_2) | instskip(NEXT) | instid1(VALU_DEP_1)
	v_and_b32_e32 v13, 0xfffff, v19
	v_add_co_u32 v19, vcc_lo, v13, v27
	v_add_co_ci_u32_e32 v20, vcc_lo, 0, v28, vcc_lo
                                        ; implicit-def: $vgpr13
	s_delay_alu instid0(VALU_DEP_4)
	v_cmpx_ne_u32_e32 0, v26
	s_xor_b32 s0, exec_lo, s0
; %bb.46:                               ;   in Loop: Header=BB15_32 Depth=1
	s_delay_alu instid0(VALU_DEP_3) | instskip(SKIP_1) | instid1(VALU_DEP_2)
	v_and_b32_e32 v17, 0x1000000, v19
	v_bfe_u32 v13, v19, 24, 1
	v_cmp_eq_u64_e32 vcc_lo, 0, v[17:18]
	s_delay_alu instid0(VALU_DEP_2)
	v_lshrrev_b64 v[19:20], v13, v[19:20]
	v_cndmask_b32_e32 v13, v25, v26, vcc_lo
; %bb.47:                               ;   in Loop: Header=BB15_32 Depth=1
	s_and_not1_saveexec_b32 s0, s0
; %bb.48:                               ;   in Loop: Header=BB15_32 Depth=1
	s_delay_alu instid0(VALU_DEP_2)
	v_bfe_u32 v13, v19, 23, 1
; %bb.49:                               ;   in Loop: Header=BB15_32 Depth=1
	s_or_b32 exec_lo, exec_lo, s0
	s_delay_alu instid0(VALU_DEP_3) | instskip(NEXT) | instid1(VALU_DEP_2)
	v_lshrrev_b64 v[19:20], 20, v[19:20]
	v_cmp_gt_i32_e32 vcc_lo, 16, v13
	v_and_b32_e32 v9, 0x80, v9
	v_min_i32_e32 v17, 15, v13
	v_cmp_eq_u32_e64 s0, 0, v13
	v_dual_cndmask_b32 v20, 0, v20 :: v_dual_cndmask_b32 v19, 7, v19
	s_delay_alu instid0(VALU_DEP_3) | instskip(NEXT) | instid1(VALU_DEP_2)
	v_lshl_or_b32 v9, v17, 3, v9
	v_cmp_eq_u64_e32 vcc_lo, 0, v[19:20]
	s_delay_alu instid0(VALU_DEP_2)
	v_and_or_b32 v9, v19, 7, v9
	s_and_b32 s0, s0, vcc_lo
	s_delay_alu instid0(VALU_DEP_1) | instid1(SALU_CYCLE_1)
	v_cndmask_b32_e64 v13, v9, 0, s0
.LBB15_50:                              ;   in Loop: Header=BB15_32 Depth=1
	s_or_b32 exec_lo, exec_lo, s16
.LBB15_51:                              ;   in Loop: Header=BB15_32 Depth=1
	s_and_not1_saveexec_b32 s0, s15
	s_delay_alu instid0(SALU_CYCLE_1)
	s_or_b32 exec_lo, exec_lo, s0
.LBB15_52:                              ;   in Loop: Header=BB15_32 Depth=1
	s_and_not1_saveexec_b32 s0, s14
	s_delay_alu instid0(SALU_CYCLE_1) | instskip(SKIP_3) | instid1(VALU_DEP_2)
	s_or_b32 exec_lo, exec_lo, s0
	v_fma_mixlo_f16 v9, v21, v10, 0 op_sel_hi:[0,1,0]
	v_add_nc_u32_e32 v25, 1, v22
	s_mov_b32 s0, exec_lo
	v_mul_f16_e32 v9, v14, v9
	global_store_b8 v25, v13, s[2:3]
	v_cvt_f32_f16_e32 v9, v9
	s_delay_alu instid0(VALU_DEP_1) | instskip(NEXT) | instid1(VALU_DEP_1)
	v_mul_f32_e32 v9, v23, v9
	v_minmax_f32 v20, v9, s13, 0xc3600000
	s_delay_alu instid0(VALU_DEP_1) | instskip(SKIP_1) | instid1(VALU_DEP_2)
	v_lshrrev_b32_e32 v9, 24, v20
	v_and_b32_e32 v17, 0x7f800000, v20
	v_or_b32_e32 v19, 0x7f, v9
	s_delay_alu instid0(VALU_DEP_2)
	v_cmpx_ne_u64_e32 0x7f800000, v[17:18]
	s_xor_b32 s14, exec_lo, s0
	s_cbranch_execz .LBB15_62
; %bb.53:                               ;   in Loop: Header=BB15_32 Depth=1
	v_and_b32_e32 v17, 0x7fffffff, v20
	s_mov_b32 s0, exec_lo
	s_delay_alu instid0(VALU_DEP_1)
	v_cmpx_gt_u64_e32 0x43700001, v[17:18]
	s_xor_b32 s15, exec_lo, s0
	s_cbranch_execz .LBB15_61
; %bb.54:                               ;   in Loop: Header=BB15_32 Depth=1
	v_mov_b32_e32 v19, 0
	s_mov_b32 s16, exec_lo
	v_cmpx_ne_u32_e32 0, v20
	s_cbranch_execz .LBB15_60
; %bb.55:                               ;   in Loop: Header=BB15_32 Depth=1
	v_bfe_u32 v13, v20, 23, 8
	v_and_b32_e32 v19, 0x7fffff, v20
	s_delay_alu instid0(VALU_DEP_2) | instskip(SKIP_2) | instid1(VALU_DEP_3)
	v_sub_nc_u32_e64 v17, 0x78, v13 clamp
	v_cmp_eq_u32_e32 vcc_lo, 0, v13
	v_add_nc_u32_e32 v13, 0xffffff89, v13
	v_cndmask_b32_e64 v29, v17, 0x77, vcc_lo
	v_or_b32_e32 v17, 0x800000, v19
	s_delay_alu instid0(VALU_DEP_3) | instskip(NEXT) | instid1(VALU_DEP_2)
	v_cndmask_b32_e64 v13, v13, 0xffffff8a, vcc_lo
	v_dual_cndmask_b32 v17, v17, v19 :: v_dual_add_nc_u32 v20, 20, v29
	v_add_nc_u32_e32 v25, 19, v29
	s_delay_alu instid0(VALU_DEP_2) | instskip(NEXT) | instid1(VALU_DEP_3)
	v_lshlrev_b64 v[19:20], v20, -1
	v_lshrrev_b64 v[27:28], v29, v[17:18]
	s_delay_alu instid0(VALU_DEP_3) | instskip(SKIP_1) | instid1(VALU_DEP_4)
	v_lshlrev_b64 v[25:26], v25, 1
	v_mov_b32_e32 v20, v18
	v_not_b32_e32 v19, v19
	s_delay_alu instid0(VALU_DEP_1) | instskip(SKIP_1) | instid1(VALU_DEP_2)
	v_and_b32_e32 v19, v17, v19
	v_and_b32_e32 v17, 0x100000, v27
	v_cmp_eq_u64_e64 s0, v[19:20], v[25:26]
	s_delay_alu instid0(VALU_DEP_2) | instskip(SKIP_1) | instid1(VALU_DEP_1)
	v_cmp_eq_u64_e64 s1, 0, v[17:18]
	v_lshrrev_b32_e32 v17, 23, v27
	v_add3_u32 v25, v13, v29, v17
	s_delay_alu instid0(VALU_DEP_3) | instskip(SKIP_2) | instid1(VALU_DEP_2)
	s_and_b32 vcc_lo, s1, s0
	s_mov_b32 s0, exec_lo
	v_subrev_co_ci_u32_e32 v19, vcc_lo, 0, v27, vcc_lo
	v_add_nc_u32_e32 v26, -1, v25
	s_delay_alu instid0(VALU_DEP_2) | instskip(NEXT) | instid1(VALU_DEP_1)
	v_and_b32_e32 v13, 0xfffff, v19
	v_add_co_u32 v19, vcc_lo, v13, v27
	v_add_co_ci_u32_e32 v20, vcc_lo, 0, v28, vcc_lo
                                        ; implicit-def: $vgpr13
	s_delay_alu instid0(VALU_DEP_4)
	v_cmpx_ne_u32_e32 0, v26
	s_xor_b32 s0, exec_lo, s0
; %bb.56:                               ;   in Loop: Header=BB15_32 Depth=1
	s_delay_alu instid0(VALU_DEP_3) | instskip(SKIP_1) | instid1(VALU_DEP_2)
	v_and_b32_e32 v17, 0x1000000, v19
	v_bfe_u32 v13, v19, 24, 1
	v_cmp_eq_u64_e32 vcc_lo, 0, v[17:18]
	s_delay_alu instid0(VALU_DEP_2)
	v_lshrrev_b64 v[19:20], v13, v[19:20]
	v_cndmask_b32_e32 v13, v25, v26, vcc_lo
; %bb.57:                               ;   in Loop: Header=BB15_32 Depth=1
	s_and_not1_saveexec_b32 s0, s0
; %bb.58:                               ;   in Loop: Header=BB15_32 Depth=1
	s_delay_alu instid0(VALU_DEP_2)
	v_bfe_u32 v13, v19, 23, 1
; %bb.59:                               ;   in Loop: Header=BB15_32 Depth=1
	s_or_b32 exec_lo, exec_lo, s0
	s_delay_alu instid0(VALU_DEP_3) | instskip(NEXT) | instid1(VALU_DEP_2)
	v_lshrrev_b64 v[19:20], 20, v[19:20]
	v_cmp_gt_i32_e32 vcc_lo, 16, v13
	v_and_b32_e32 v9, 0x80, v9
	v_min_i32_e32 v17, 15, v13
	v_cmp_eq_u32_e64 s0, 0, v13
	v_dual_cndmask_b32 v20, 0, v20 :: v_dual_cndmask_b32 v19, 7, v19
	s_delay_alu instid0(VALU_DEP_3) | instskip(NEXT) | instid1(VALU_DEP_2)
	v_lshl_or_b32 v9, v17, 3, v9
	v_cmp_eq_u64_e32 vcc_lo, 0, v[19:20]
	s_delay_alu instid0(VALU_DEP_2)
	v_and_or_b32 v9, v19, 7, v9
	s_and_b32 s0, s0, vcc_lo
	s_delay_alu instid0(VALU_DEP_1) | instid1(SALU_CYCLE_1)
	v_cndmask_b32_e64 v19, v9, 0, s0
.LBB15_60:                              ;   in Loop: Header=BB15_32 Depth=1
	s_or_b32 exec_lo, exec_lo, s16
.LBB15_61:                              ;   in Loop: Header=BB15_32 Depth=1
	s_and_not1_saveexec_b32 s0, s15
	s_delay_alu instid0(SALU_CYCLE_1)
	s_or_b32 exec_lo, exec_lo, s0
.LBB15_62:                              ;   in Loop: Header=BB15_32 Depth=1
	s_and_not1_saveexec_b32 s0, s14
	s_delay_alu instid0(SALU_CYCLE_1) | instskip(SKIP_4) | instid1(VALU_DEP_2)
	s_or_b32 exec_lo, exec_lo, s0
	v_lshrrev_b32_e32 v9, 16, v14
	v_fma_mixlo_f16 v10, v21, v10, 0 op_sel:[0,1,0] op_sel_hi:[0,1,0]
	s_mov_b32 s0, exec_lo
	v_add_nc_u32_e32 v14, 2, v22
	v_mul_f16_e32 v9, v9, v10
	global_store_b8 v14, v19, s[2:3]
	v_cvt_f32_f16_e32 v9, v9
	s_delay_alu instid0(VALU_DEP_1) | instskip(NEXT) | instid1(VALU_DEP_1)
	v_mul_f32_e32 v9, v23, v9
	v_minmax_f32 v9, v9, s13, 0xc3600000
	s_delay_alu instid0(VALU_DEP_1) | instskip(SKIP_1) | instid1(VALU_DEP_2)
	v_lshrrev_b32_e32 v13, 24, v9
	v_and_b32_e32 v17, 0x7f800000, v9
	v_or_b32_e32 v10, 0x7f, v13
	s_delay_alu instid0(VALU_DEP_2)
	v_cmpx_ne_u64_e32 0x7f800000, v[17:18]
	s_xor_b32 s14, exec_lo, s0
	s_cbranch_execz .LBB15_72
; %bb.63:                               ;   in Loop: Header=BB15_32 Depth=1
	v_and_b32_e32 v17, 0x7fffffff, v9
	s_mov_b32 s0, exec_lo
	s_delay_alu instid0(VALU_DEP_1)
	v_cmpx_gt_u64_e32 0x43700001, v[17:18]
	s_xor_b32 s15, exec_lo, s0
	s_cbranch_execz .LBB15_71
; %bb.64:                               ;   in Loop: Header=BB15_32 Depth=1
	v_mov_b32_e32 v10, 0
	s_mov_b32 s16, exec_lo
	v_cmpx_ne_u32_e32 0, v9
	s_cbranch_execz .LBB15_70
; %bb.65:                               ;   in Loop: Header=BB15_32 Depth=1
	v_bfe_u32 v14, v9, 23, 8
	v_and_b32_e32 v9, 0x7fffff, v9
	s_delay_alu instid0(VALU_DEP_2) | instskip(SKIP_2) | instid1(VALU_DEP_3)
	v_sub_nc_u32_e64 v10, 0x78, v14 clamp
	v_cmp_eq_u32_e32 vcc_lo, 0, v14
	v_add_nc_u32_e32 v14, 0xffffff89, v14
	v_cndmask_b32_e64 v27, v10, 0x77, vcc_lo
	v_or_b32_e32 v10, 0x800000, v9
	s_delay_alu instid0(VALU_DEP_2) | instskip(NEXT) | instid1(VALU_DEP_2)
	v_add_nc_u32_e32 v19, 20, v27
	v_cndmask_b32_e32 v17, v10, v9, vcc_lo
	s_delay_alu instid0(VALU_DEP_2) | instskip(SKIP_1) | instid1(VALU_DEP_3)
	v_lshlrev_b64 v[9:10], v19, -1
	v_add_nc_u32_e32 v19, 19, v27
	v_lshrrev_b64 v[25:26], v27, v[17:18]
	v_mov_b32_e32 v10, v18
	s_delay_alu instid0(VALU_DEP_3) | instskip(SKIP_1) | instid1(VALU_DEP_1)
	v_lshlrev_b64 v[19:20], v19, 1
	v_not_b32_e32 v9, v9
	v_and_b32_e32 v9, v17, v9
	v_and_b32_e32 v17, 0x100000, v25
	s_delay_alu instid0(VALU_DEP_2) | instskip(NEXT) | instid1(VALU_DEP_2)
	v_cmp_eq_u64_e64 s0, v[9:10], v[19:20]
	v_cmp_eq_u64_e64 s1, 0, v[17:18]
	v_cndmask_b32_e64 v9, v14, 0xffffff8a, vcc_lo
	v_lshrrev_b32_e32 v10, 23, v25
	s_delay_alu instid0(VALU_DEP_3) | instskip(NEXT) | instid1(VALU_DEP_1)
	s_and_b32 vcc_lo, s1, s0
	v_add3_u32 v19, v9, v27, v10
	v_subrev_co_ci_u32_e32 v14, vcc_lo, 0, v25, vcc_lo
	s_mov_b32 s0, exec_lo
	s_delay_alu instid0(VALU_DEP_2) | instskip(NEXT) | instid1(VALU_DEP_2)
	v_add_nc_u32_e32 v20, -1, v19
	v_and_b32_e32 v9, 0xfffff, v14
                                        ; implicit-def: $vgpr14
	s_delay_alu instid0(VALU_DEP_1) | instskip(SKIP_1) | instid1(VALU_DEP_4)
	v_add_co_u32 v9, vcc_lo, v9, v25
	v_add_co_ci_u32_e32 v10, vcc_lo, 0, v26, vcc_lo
	v_cmpx_ne_u32_e32 0, v20
	s_xor_b32 s0, exec_lo, s0
; %bb.66:                               ;   in Loop: Header=BB15_32 Depth=1
	s_delay_alu instid0(VALU_DEP_3) | instskip(SKIP_1) | instid1(VALU_DEP_2)
	v_and_b32_e32 v17, 0x1000000, v9
	v_bfe_u32 v14, v9, 24, 1
	v_cmp_eq_u64_e32 vcc_lo, 0, v[17:18]
	s_delay_alu instid0(VALU_DEP_2)
	v_lshrrev_b64 v[9:10], v14, v[9:10]
	v_cndmask_b32_e32 v14, v19, v20, vcc_lo
; %bb.67:                               ;   in Loop: Header=BB15_32 Depth=1
	s_and_not1_saveexec_b32 s0, s0
; %bb.68:                               ;   in Loop: Header=BB15_32 Depth=1
	s_delay_alu instid0(VALU_DEP_2)
	v_bfe_u32 v14, v9, 23, 1
; %bb.69:                               ;   in Loop: Header=BB15_32 Depth=1
	s_or_b32 exec_lo, exec_lo, s0
	s_delay_alu instid0(VALU_DEP_3) | instskip(NEXT) | instid1(VALU_DEP_2)
	v_lshrrev_b64 v[9:10], 20, v[9:10]
	v_cmp_gt_i32_e32 vcc_lo, 16, v14
	v_and_b32_e32 v13, 0x80, v13
	v_min_i32_e32 v17, 15, v14
	v_cmp_eq_u32_e64 s0, 0, v14
	v_dual_cndmask_b32 v10, 0, v10 :: v_dual_cndmask_b32 v9, 7, v9
	s_delay_alu instid0(VALU_DEP_3) | instskip(NEXT) | instid1(VALU_DEP_2)
	v_lshl_or_b32 v13, v17, 3, v13
	v_cmp_eq_u64_e32 vcc_lo, 0, v[9:10]
	s_delay_alu instid0(VALU_DEP_2)
	v_and_or_b32 v9, v9, 7, v13
	s_and_b32 s0, s0, vcc_lo
	s_delay_alu instid0(VALU_DEP_1) | instid1(SALU_CYCLE_1)
	v_cndmask_b32_e64 v10, v9, 0, s0
.LBB15_70:                              ;   in Loop: Header=BB15_32 Depth=1
	s_or_b32 exec_lo, exec_lo, s16
.LBB15_71:                              ;   in Loop: Header=BB15_32 Depth=1
	s_and_not1_saveexec_b32 s0, s15
	s_delay_alu instid0(SALU_CYCLE_1)
	s_or_b32 exec_lo, exec_lo, s0
.LBB15_72:                              ;   in Loop: Header=BB15_32 Depth=1
	s_and_not1_saveexec_b32 s0, s14
	s_delay_alu instid0(SALU_CYCLE_1) | instskip(SKIP_3) | instid1(VALU_DEP_2)
	s_or_b32 exec_lo, exec_lo, s0
	v_fma_mixlo_f16 v9, v21, v11, 0 op_sel_hi:[0,1,0]
	v_add_nc_u32_e32 v19, 3, v22
	s_mov_b32 s0, exec_lo
	v_mul_f16_e32 v9, v15, v9
	global_store_b8 v19, v10, s[2:3]
	v_cvt_f32_f16_e32 v9, v9
	s_delay_alu instid0(VALU_DEP_1) | instskip(NEXT) | instid1(VALU_DEP_1)
	v_mul_f32_e32 v9, v23, v9
	v_minmax_f32 v14, v9, s13, 0xc3600000
	s_delay_alu instid0(VALU_DEP_1) | instskip(SKIP_1) | instid1(VALU_DEP_2)
	v_lshrrev_b32_e32 v13, 24, v14
	v_and_b32_e32 v17, 0x7f800000, v14
	v_or_b32_e32 v9, 0x7f, v13
	s_delay_alu instid0(VALU_DEP_2)
	v_cmpx_ne_u64_e32 0x7f800000, v[17:18]
	s_xor_b32 s14, exec_lo, s0
	s_cbranch_execz .LBB15_82
; %bb.73:                               ;   in Loop: Header=BB15_32 Depth=1
	v_and_b32_e32 v17, 0x7fffffff, v14
	s_mov_b32 s0, exec_lo
	s_delay_alu instid0(VALU_DEP_1)
	v_cmpx_gt_u64_e32 0x43700001, v[17:18]
	s_xor_b32 s15, exec_lo, s0
	s_cbranch_execz .LBB15_81
; %bb.74:                               ;   in Loop: Header=BB15_32 Depth=1
	v_mov_b32_e32 v9, 0
	s_mov_b32 s16, exec_lo
	v_cmpx_ne_u32_e32 0, v14
	s_cbranch_execz .LBB15_80
; %bb.75:                               ;   in Loop: Header=BB15_32 Depth=1
	v_bfe_u32 v27, v14, 23, 8
	v_and_b32_e32 v10, 0x7fffff, v14
	s_delay_alu instid0(VALU_DEP_2) | instskip(SKIP_2) | instid1(VALU_DEP_3)
	v_sub_nc_u32_e64 v9, 0x78, v27 clamp
	v_cmp_eq_u32_e32 vcc_lo, 0, v27
	v_add_nc_u32_e32 v27, 0xffffff89, v27
	v_cndmask_b32_e64 v14, v9, 0x77, vcc_lo
	v_or_b32_e32 v9, 0x800000, v10
	s_delay_alu instid0(VALU_DEP_2) | instskip(NEXT) | instid1(VALU_DEP_2)
	v_add_nc_u32_e32 v19, 20, v14
	v_cndmask_b32_e32 v17, v9, v10, vcc_lo
	s_delay_alu instid0(VALU_DEP_2) | instskip(SKIP_1) | instid1(VALU_DEP_3)
	v_lshlrev_b64 v[9:10], v19, -1
	v_add_nc_u32_e32 v19, 19, v14
	v_lshrrev_b64 v[25:26], v14, v[17:18]
	v_mov_b32_e32 v10, v18
	s_delay_alu instid0(VALU_DEP_3) | instskip(SKIP_1) | instid1(VALU_DEP_1)
	v_lshlrev_b64 v[19:20], v19, 1
	v_not_b32_e32 v9, v9
	v_and_b32_e32 v9, v17, v9
	v_and_b32_e32 v17, 0x100000, v25
	s_delay_alu instid0(VALU_DEP_2) | instskip(NEXT) | instid1(VALU_DEP_2)
	v_cmp_eq_u64_e64 s0, v[9:10], v[19:20]
	v_cmp_eq_u64_e64 s1, 0, v[17:18]
	v_cndmask_b32_e64 v9, v27, 0xffffff8a, vcc_lo
	v_lshrrev_b32_e32 v10, 23, v25
	s_delay_alu instid0(VALU_DEP_3) | instskip(NEXT) | instid1(VALU_DEP_1)
	s_and_b32 vcc_lo, s1, s0
	v_add3_u32 v19, v9, v14, v10
	v_subrev_co_ci_u32_e32 v17, vcc_lo, 0, v25, vcc_lo
	s_mov_b32 s0, exec_lo
                                        ; implicit-def: $vgpr14
	s_delay_alu instid0(VALU_DEP_2) | instskip(NEXT) | instid1(VALU_DEP_2)
	v_add_nc_u32_e32 v20, -1, v19
	v_and_b32_e32 v9, 0xfffff, v17
	s_delay_alu instid0(VALU_DEP_1) | instskip(SKIP_1) | instid1(VALU_DEP_4)
	v_add_co_u32 v9, vcc_lo, v9, v25
	v_add_co_ci_u32_e32 v10, vcc_lo, 0, v26, vcc_lo
	v_cmpx_ne_u32_e32 0, v20
	s_xor_b32 s0, exec_lo, s0
; %bb.76:                               ;   in Loop: Header=BB15_32 Depth=1
	s_delay_alu instid0(VALU_DEP_3) | instskip(SKIP_1) | instid1(VALU_DEP_2)
	v_and_b32_e32 v17, 0x1000000, v9
	v_bfe_u32 v14, v9, 24, 1
	v_cmp_eq_u64_e32 vcc_lo, 0, v[17:18]
	s_delay_alu instid0(VALU_DEP_2)
	v_lshrrev_b64 v[9:10], v14, v[9:10]
	v_cndmask_b32_e32 v14, v19, v20, vcc_lo
; %bb.77:                               ;   in Loop: Header=BB15_32 Depth=1
	s_and_not1_saveexec_b32 s0, s0
; %bb.78:                               ;   in Loop: Header=BB15_32 Depth=1
	s_delay_alu instid0(VALU_DEP_2)
	v_bfe_u32 v14, v9, 23, 1
; %bb.79:                               ;   in Loop: Header=BB15_32 Depth=1
	s_or_b32 exec_lo, exec_lo, s0
	s_delay_alu instid0(VALU_DEP_3) | instskip(NEXT) | instid1(VALU_DEP_2)
	v_lshrrev_b64 v[9:10], 20, v[9:10]
	v_cmp_gt_i32_e32 vcc_lo, 16, v14
	v_and_b32_e32 v13, 0x80, v13
	v_min_i32_e32 v17, 15, v14
	v_cmp_eq_u32_e64 s0, 0, v14
	v_dual_cndmask_b32 v10, 0, v10 :: v_dual_cndmask_b32 v9, 7, v9
	s_delay_alu instid0(VALU_DEP_3) | instskip(NEXT) | instid1(VALU_DEP_2)
	v_lshl_or_b32 v13, v17, 3, v13
	v_cmp_eq_u64_e32 vcc_lo, 0, v[9:10]
	s_delay_alu instid0(VALU_DEP_2)
	v_and_or_b32 v9, v9, 7, v13
	s_and_b32 s0, s0, vcc_lo
	s_delay_alu instid0(VALU_DEP_1) | instid1(SALU_CYCLE_1)
	v_cndmask_b32_e64 v9, v9, 0, s0
.LBB15_80:                              ;   in Loop: Header=BB15_32 Depth=1
	s_or_b32 exec_lo, exec_lo, s16
.LBB15_81:                              ;   in Loop: Header=BB15_32 Depth=1
	s_and_not1_saveexec_b32 s0, s15
	s_delay_alu instid0(SALU_CYCLE_1)
	s_or_b32 exec_lo, exec_lo, s0
.LBB15_82:                              ;   in Loop: Header=BB15_32 Depth=1
	s_and_not1_saveexec_b32 s0, s14
	s_delay_alu instid0(SALU_CYCLE_1) | instskip(SKIP_4) | instid1(VALU_DEP_2)
	s_or_b32 exec_lo, exec_lo, s0
	v_lshrrev_b32_e32 v10, 16, v15
	v_fma_mixlo_f16 v11, v21, v11, 0 op_sel:[0,1,0] op_sel_hi:[0,1,0]
	v_add_nc_u32_e32 v14, 4, v22
	s_mov_b32 s0, exec_lo
	v_mul_f16_e32 v10, v10, v11
	global_store_b8 v14, v9, s[2:3]
	v_cvt_f32_f16_e32 v10, v10
	s_delay_alu instid0(VALU_DEP_1) | instskip(NEXT) | instid1(VALU_DEP_1)
	v_mul_f32_e32 v10, v23, v10
	v_minmax_f32 v13, v10, s13, 0xc3600000
	s_delay_alu instid0(VALU_DEP_1) | instskip(SKIP_1) | instid1(VALU_DEP_1)
	v_and_b32_e32 v17, 0x7f800000, v13
	v_lshrrev_b32_e32 v11, 24, v13
	v_or_b32_e32 v10, 0x7f, v11
	s_delay_alu instid0(VALU_DEP_3)
	v_cmpx_ne_u64_e32 0x7f800000, v[17:18]
	s_xor_b32 s14, exec_lo, s0
	s_cbranch_execz .LBB15_92
; %bb.83:                               ;   in Loop: Header=BB15_32 Depth=1
	v_and_b32_e32 v17, 0x7fffffff, v13
	s_mov_b32 s0, exec_lo
	s_delay_alu instid0(VALU_DEP_1)
	v_cmpx_gt_u64_e32 0x43700001, v[17:18]
	s_xor_b32 s15, exec_lo, s0
	s_cbranch_execz .LBB15_91
; %bb.84:                               ;   in Loop: Header=BB15_32 Depth=1
	v_mov_b32_e32 v10, 0
	s_mov_b32 s16, exec_lo
	v_cmpx_ne_u32_e32 0, v13
	s_cbranch_execz .LBB15_90
; %bb.85:                               ;   in Loop: Header=BB15_32 Depth=1
	v_bfe_u32 v15, v13, 23, 8
	v_and_b32_e32 v10, 0x7fffff, v13
	s_delay_alu instid0(VALU_DEP_2) | instskip(SKIP_2) | instid1(VALU_DEP_3)
	v_sub_nc_u32_e64 v9, 0x78, v15 clamp
	v_cmp_eq_u32_e32 vcc_lo, 0, v15
	v_add_nc_u32_e32 v15, 0xffffff89, v15
	v_cndmask_b32_e64 v25, v9, 0x77, vcc_lo
	v_or_b32_e32 v9, 0x800000, v10
	s_delay_alu instid0(VALU_DEP_2) | instskip(NEXT) | instid1(VALU_DEP_2)
	v_add_nc_u32_e32 v13, 20, v25
	v_cndmask_b32_e32 v17, v9, v10, vcc_lo
	s_delay_alu instid0(VALU_DEP_2) | instskip(SKIP_1) | instid1(VALU_DEP_3)
	v_lshlrev_b64 v[9:10], v13, -1
	v_dual_mov_b32 v10, v18 :: v_dual_add_nc_u32 v13, 19, v25
	v_lshrrev_b64 v[19:20], v25, v[17:18]
	s_delay_alu instid0(VALU_DEP_3) | instskip(NEXT) | instid1(VALU_DEP_3)
	v_not_b32_e32 v9, v9
	v_lshlrev_b64 v[13:14], v13, 1
	s_delay_alu instid0(VALU_DEP_2) | instskip(NEXT) | instid1(VALU_DEP_4)
	v_and_b32_e32 v9, v17, v9
	v_and_b32_e32 v17, 0x100000, v19
	s_delay_alu instid0(VALU_DEP_2) | instskip(NEXT) | instid1(VALU_DEP_2)
	v_cmp_eq_u64_e64 s0, v[9:10], v[13:14]
	v_cmp_eq_u64_e64 s1, 0, v[17:18]
	v_cndmask_b32_e64 v9, v15, 0xffffff8a, vcc_lo
	v_lshrrev_b32_e32 v10, 23, v19
	s_delay_alu instid0(VALU_DEP_3) | instskip(NEXT) | instid1(VALU_DEP_1)
	s_and_b32 vcc_lo, s1, s0
	v_add3_u32 v14, v9, v25, v10
	v_subrev_co_ci_u32_e32 v13, vcc_lo, 0, v19, vcc_lo
	s_mov_b32 s0, exec_lo
	s_delay_alu instid0(VALU_DEP_2) | instskip(NEXT) | instid1(VALU_DEP_2)
	v_add_nc_u32_e32 v15, -1, v14
	v_and_b32_e32 v9, 0xfffff, v13
                                        ; implicit-def: $vgpr13
	s_delay_alu instid0(VALU_DEP_1) | instskip(SKIP_1) | instid1(VALU_DEP_4)
	v_add_co_u32 v9, vcc_lo, v9, v19
	v_add_co_ci_u32_e32 v10, vcc_lo, 0, v20, vcc_lo
	v_cmpx_ne_u32_e32 0, v15
	s_xor_b32 s0, exec_lo, s0
; %bb.86:                               ;   in Loop: Header=BB15_32 Depth=1
	s_delay_alu instid0(VALU_DEP_3) | instskip(SKIP_1) | instid1(VALU_DEP_2)
	v_and_b32_e32 v17, 0x1000000, v9
	v_bfe_u32 v13, v9, 24, 1
	v_cmp_eq_u64_e32 vcc_lo, 0, v[17:18]
	s_delay_alu instid0(VALU_DEP_2)
	v_lshrrev_b64 v[9:10], v13, v[9:10]
	v_cndmask_b32_e32 v13, v14, v15, vcc_lo
; %bb.87:                               ;   in Loop: Header=BB15_32 Depth=1
	s_and_not1_saveexec_b32 s0, s0
; %bb.88:                               ;   in Loop: Header=BB15_32 Depth=1
	s_delay_alu instid0(VALU_DEP_2)
	v_bfe_u32 v13, v9, 23, 1
; %bb.89:                               ;   in Loop: Header=BB15_32 Depth=1
	s_or_b32 exec_lo, exec_lo, s0
	s_delay_alu instid0(VALU_DEP_3) | instskip(NEXT) | instid1(VALU_DEP_2)
	v_lshrrev_b64 v[9:10], 20, v[9:10]
	v_cmp_gt_i32_e32 vcc_lo, 16, v13
	v_and_b32_e32 v11, 0x80, v11
	v_min_i32_e32 v14, 15, v13
	v_cmp_eq_u32_e64 s0, 0, v13
	v_dual_cndmask_b32 v10, 0, v10 :: v_dual_cndmask_b32 v9, 7, v9
	s_delay_alu instid0(VALU_DEP_3) | instskip(NEXT) | instid1(VALU_DEP_2)
	v_lshl_or_b32 v11, v14, 3, v11
	v_cmp_eq_u64_e32 vcc_lo, 0, v[9:10]
	s_delay_alu instid0(VALU_DEP_2)
	v_and_or_b32 v9, v9, 7, v11
	s_and_b32 s0, s0, vcc_lo
	s_delay_alu instid0(VALU_DEP_1) | instid1(SALU_CYCLE_1)
	v_cndmask_b32_e64 v10, v9, 0, s0
.LBB15_90:                              ;   in Loop: Header=BB15_32 Depth=1
	s_or_b32 exec_lo, exec_lo, s16
.LBB15_91:                              ;   in Loop: Header=BB15_32 Depth=1
	s_and_not1_saveexec_b32 s0, s15
	s_delay_alu instid0(SALU_CYCLE_1)
	s_or_b32 exec_lo, exec_lo, s0
.LBB15_92:                              ;   in Loop: Header=BB15_32 Depth=1
	s_and_not1_saveexec_b32 s0, s14
	s_delay_alu instid0(SALU_CYCLE_1) | instskip(SKIP_3) | instid1(VALU_DEP_2)
	s_or_b32 exec_lo, exec_lo, s0
	v_fma_mixlo_f16 v9, v21, v12, 0 op_sel_hi:[0,1,0]
	s_mov_b32 s0, exec_lo
	v_add_nc_u32_e32 v14, 5, v22
	v_mul_f16_e32 v9, v16, v9
	global_store_b8 v14, v10, s[2:3]
	v_cvt_f32_f16_e32 v9, v9
	s_delay_alu instid0(VALU_DEP_1) | instskip(NEXT) | instid1(VALU_DEP_1)
	v_mul_f32_e32 v9, v23, v9
	v_minmax_f32 v13, v9, s13, 0xc3600000
	s_delay_alu instid0(VALU_DEP_1) | instskip(SKIP_1) | instid1(VALU_DEP_2)
	v_lshrrev_b32_e32 v11, 24, v13
	v_and_b32_e32 v17, 0x7f800000, v13
	v_or_b32_e32 v9, 0x7f, v11
	s_delay_alu instid0(VALU_DEP_2)
	v_cmpx_ne_u64_e32 0x7f800000, v[17:18]
	s_xor_b32 s14, exec_lo, s0
	s_cbranch_execz .LBB15_102
; %bb.93:                               ;   in Loop: Header=BB15_32 Depth=1
	v_and_b32_e32 v17, 0x7fffffff, v13
	s_mov_b32 s0, exec_lo
	s_delay_alu instid0(VALU_DEP_1)
	v_cmpx_gt_u64_e32 0x43700001, v[17:18]
	s_xor_b32 s15, exec_lo, s0
	s_cbranch_execz .LBB15_101
; %bb.94:                               ;   in Loop: Header=BB15_32 Depth=1
	v_mov_b32_e32 v9, 0
	s_mov_b32 s16, exec_lo
	v_cmpx_ne_u32_e32 0, v13
	s_cbranch_execz .LBB15_100
; %bb.95:                               ;   in Loop: Header=BB15_32 Depth=1
	v_bfe_u32 v15, v13, 23, 8
	v_and_b32_e32 v10, 0x7fffff, v13
	s_delay_alu instid0(VALU_DEP_2) | instskip(SKIP_2) | instid1(VALU_DEP_3)
	v_sub_nc_u32_e64 v9, 0x78, v15 clamp
	v_cmp_eq_u32_e32 vcc_lo, 0, v15
	v_add_nc_u32_e32 v15, 0xffffff89, v15
	v_cndmask_b32_e64 v25, v9, 0x77, vcc_lo
	v_or_b32_e32 v9, 0x800000, v10
	s_delay_alu instid0(VALU_DEP_2) | instskip(NEXT) | instid1(VALU_DEP_2)
	v_add_nc_u32_e32 v13, 20, v25
	v_cndmask_b32_e32 v17, v9, v10, vcc_lo
	s_delay_alu instid0(VALU_DEP_2) | instskip(SKIP_1) | instid1(VALU_DEP_3)
	v_lshlrev_b64 v[9:10], v13, -1
	v_dual_mov_b32 v10, v18 :: v_dual_add_nc_u32 v13, 19, v25
	v_lshrrev_b64 v[19:20], v25, v[17:18]
	s_delay_alu instid0(VALU_DEP_3) | instskip(NEXT) | instid1(VALU_DEP_3)
	v_not_b32_e32 v9, v9
	v_lshlrev_b64 v[13:14], v13, 1
	s_delay_alu instid0(VALU_DEP_2) | instskip(NEXT) | instid1(VALU_DEP_4)
	v_and_b32_e32 v9, v17, v9
	v_and_b32_e32 v17, 0x100000, v19
	s_delay_alu instid0(VALU_DEP_2) | instskip(NEXT) | instid1(VALU_DEP_2)
	v_cmp_eq_u64_e64 s0, v[9:10], v[13:14]
	v_cmp_eq_u64_e64 s1, 0, v[17:18]
	v_cndmask_b32_e64 v9, v15, 0xffffff8a, vcc_lo
	v_lshrrev_b32_e32 v10, 23, v19
	s_delay_alu instid0(VALU_DEP_3) | instskip(NEXT) | instid1(VALU_DEP_1)
	s_and_b32 vcc_lo, s1, s0
	v_add3_u32 v14, v9, v25, v10
	v_subrev_co_ci_u32_e32 v13, vcc_lo, 0, v19, vcc_lo
	s_mov_b32 s0, exec_lo
	s_delay_alu instid0(VALU_DEP_2) | instskip(NEXT) | instid1(VALU_DEP_2)
	v_add_nc_u32_e32 v15, -1, v14
	v_and_b32_e32 v9, 0xfffff, v13
                                        ; implicit-def: $vgpr13
	s_delay_alu instid0(VALU_DEP_1) | instskip(SKIP_1) | instid1(VALU_DEP_4)
	v_add_co_u32 v9, vcc_lo, v9, v19
	v_add_co_ci_u32_e32 v10, vcc_lo, 0, v20, vcc_lo
	v_cmpx_ne_u32_e32 0, v15
	s_xor_b32 s0, exec_lo, s0
; %bb.96:                               ;   in Loop: Header=BB15_32 Depth=1
	s_delay_alu instid0(VALU_DEP_3) | instskip(SKIP_1) | instid1(VALU_DEP_2)
	v_and_b32_e32 v17, 0x1000000, v9
	v_bfe_u32 v13, v9, 24, 1
	v_cmp_eq_u64_e32 vcc_lo, 0, v[17:18]
	s_delay_alu instid0(VALU_DEP_2)
	v_lshrrev_b64 v[9:10], v13, v[9:10]
	v_cndmask_b32_e32 v13, v14, v15, vcc_lo
; %bb.97:                               ;   in Loop: Header=BB15_32 Depth=1
	s_and_not1_saveexec_b32 s0, s0
; %bb.98:                               ;   in Loop: Header=BB15_32 Depth=1
	s_delay_alu instid0(VALU_DEP_2)
	v_bfe_u32 v13, v9, 23, 1
; %bb.99:                               ;   in Loop: Header=BB15_32 Depth=1
	s_or_b32 exec_lo, exec_lo, s0
	s_delay_alu instid0(VALU_DEP_3) | instskip(NEXT) | instid1(VALU_DEP_2)
	v_lshrrev_b64 v[9:10], 20, v[9:10]
	v_cmp_gt_i32_e32 vcc_lo, 16, v13
	v_and_b32_e32 v11, 0x80, v11
	v_min_i32_e32 v14, 15, v13
	v_cmp_eq_u32_e64 s0, 0, v13
	v_dual_cndmask_b32 v10, 0, v10 :: v_dual_cndmask_b32 v9, 7, v9
	s_delay_alu instid0(VALU_DEP_3) | instskip(NEXT) | instid1(VALU_DEP_2)
	v_lshl_or_b32 v11, v14, 3, v11
	v_cmp_eq_u64_e32 vcc_lo, 0, v[9:10]
	s_delay_alu instid0(VALU_DEP_2)
	v_and_or_b32 v9, v9, 7, v11
	s_and_b32 s0, s0, vcc_lo
	s_delay_alu instid0(VALU_DEP_1) | instid1(SALU_CYCLE_1)
	v_cndmask_b32_e64 v9, v9, 0, s0
.LBB15_100:                             ;   in Loop: Header=BB15_32 Depth=1
	s_or_b32 exec_lo, exec_lo, s16
.LBB15_101:                             ;   in Loop: Header=BB15_32 Depth=1
	s_and_not1_saveexec_b32 s0, s15
	s_delay_alu instid0(SALU_CYCLE_1)
	s_or_b32 exec_lo, exec_lo, s0
.LBB15_102:                             ;   in Loop: Header=BB15_32 Depth=1
	s_and_not1_saveexec_b32 s0, s14
	s_delay_alu instid0(SALU_CYCLE_1) | instskip(SKIP_4) | instid1(VALU_DEP_2)
	s_or_b32 exec_lo, exec_lo, s0
	v_lshrrev_b32_e32 v10, 16, v16
	v_fma_mixlo_f16 v11, v21, v12, 0 op_sel:[0,1,0] op_sel_hi:[0,1,0]
	v_add_nc_u32_e32 v13, 6, v22
	s_mov_b32 s0, exec_lo
	v_mul_f16_e32 v10, v10, v11
	global_store_b8 v13, v9, s[2:3]
	v_cvt_f32_f16_e32 v10, v10
	s_delay_alu instid0(VALU_DEP_1) | instskip(NEXT) | instid1(VALU_DEP_1)
	v_mul_f32_e32 v10, v23, v10
	v_minmax_f32 v12, v10, s13, 0xc3600000
	s_delay_alu instid0(VALU_DEP_1) | instskip(SKIP_1) | instid1(VALU_DEP_1)
	v_and_b32_e32 v17, 0x7f800000, v12
	v_lshrrev_b32_e32 v11, 24, v12
	v_or_b32_e32 v10, 0x7f, v11
	s_delay_alu instid0(VALU_DEP_3)
	v_cmpx_ne_u64_e32 0x7f800000, v[17:18]
	s_xor_b32 s14, exec_lo, s0
	s_cbranch_execz .LBB15_112
; %bb.103:                              ;   in Loop: Header=BB15_32 Depth=1
	v_and_b32_e32 v17, 0x7fffffff, v12
	s_mov_b32 s0, exec_lo
	s_delay_alu instid0(VALU_DEP_1)
	v_cmpx_gt_u64_e32 0x43700001, v[17:18]
	s_xor_b32 s15, exec_lo, s0
	s_cbranch_execz .LBB15_111
; %bb.104:                              ;   in Loop: Header=BB15_32 Depth=1
	v_mov_b32_e32 v10, 0
	s_mov_b32 s16, exec_lo
	v_cmpx_ne_u32_e32 0, v12
	s_cbranch_execz .LBB15_110
; %bb.105:                              ;   in Loop: Header=BB15_32 Depth=1
	v_bfe_u32 v14, v12, 23, 8
	v_and_b32_e32 v10, 0x7fffff, v12
	s_delay_alu instid0(VALU_DEP_2) | instskip(SKIP_2) | instid1(VALU_DEP_3)
	v_sub_nc_u32_e64 v9, 0x78, v14 clamp
	v_cmp_eq_u32_e32 vcc_lo, 0, v14
	v_add_nc_u32_e32 v14, 0xffffff89, v14
	v_cndmask_b32_e64 v19, v9, 0x77, vcc_lo
	v_or_b32_e32 v9, 0x800000, v10
	s_delay_alu instid0(VALU_DEP_1) | instskip(NEXT) | instid1(VALU_DEP_1)
	v_dual_cndmask_b32 v17, v9, v10 :: v_dual_add_nc_u32 v12, 20, v19
	v_lshlrev_b64 v[9:10], v12, -1
	v_add_nc_u32_e32 v12, 19, v19
	s_delay_alu instid0(VALU_DEP_3) | instskip(NEXT) | instid1(VALU_DEP_2)
	v_lshrrev_b64 v[15:16], v19, v[17:18]
	v_lshlrev_b64 v[12:13], v12, 1
	s_delay_alu instid0(VALU_DEP_4) | instskip(NEXT) | instid1(VALU_DEP_1)
	v_not_b32_e32 v9, v9
	v_dual_mov_b32 v10, v18 :: v_dual_and_b32 v9, v17, v9
	s_delay_alu instid0(VALU_DEP_4) | instskip(NEXT) | instid1(VALU_DEP_2)
	v_and_b32_e32 v17, 0x100000, v15
	v_cmp_eq_u64_e64 s0, v[9:10], v[12:13]
	s_delay_alu instid0(VALU_DEP_2) | instskip(SKIP_2) | instid1(VALU_DEP_3)
	v_cmp_eq_u64_e64 s1, 0, v[17:18]
	v_cndmask_b32_e64 v9, v14, 0xffffff8a, vcc_lo
	v_lshrrev_b32_e32 v10, 23, v15
	s_and_b32 vcc_lo, s1, s0
	s_delay_alu instid0(VALU_DEP_1) | instskip(SKIP_2) | instid1(VALU_DEP_2)
	v_add3_u32 v13, v9, v19, v10
	v_subrev_co_ci_u32_e32 v12, vcc_lo, 0, v15, vcc_lo
	s_mov_b32 s0, exec_lo
	v_add_nc_u32_e32 v14, -1, v13
	s_delay_alu instid0(VALU_DEP_2) | instskip(NEXT) | instid1(VALU_DEP_1)
	v_and_b32_e32 v9, 0xfffff, v12
                                        ; implicit-def: $vgpr12
	v_add_co_u32 v9, vcc_lo, v9, v15
	v_add_co_ci_u32_e32 v10, vcc_lo, 0, v16, vcc_lo
	s_delay_alu instid0(VALU_DEP_4)
	v_cmpx_ne_u32_e32 0, v14
	s_xor_b32 s0, exec_lo, s0
; %bb.106:                              ;   in Loop: Header=BB15_32 Depth=1
	s_delay_alu instid0(VALU_DEP_3) | instskip(SKIP_1) | instid1(VALU_DEP_2)
	v_and_b32_e32 v17, 0x1000000, v9
	v_bfe_u32 v12, v9, 24, 1
	v_cmp_eq_u64_e32 vcc_lo, 0, v[17:18]
	s_delay_alu instid0(VALU_DEP_2)
	v_lshrrev_b64 v[9:10], v12, v[9:10]
	v_cndmask_b32_e32 v12, v13, v14, vcc_lo
; %bb.107:                              ;   in Loop: Header=BB15_32 Depth=1
	s_and_not1_saveexec_b32 s0, s0
; %bb.108:                              ;   in Loop: Header=BB15_32 Depth=1
	s_delay_alu instid0(VALU_DEP_2)
	v_bfe_u32 v12, v9, 23, 1
; %bb.109:                              ;   in Loop: Header=BB15_32 Depth=1
	s_or_b32 exec_lo, exec_lo, s0
	s_delay_alu instid0(VALU_DEP_3) | instskip(NEXT) | instid1(VALU_DEP_2)
	v_lshrrev_b64 v[9:10], 20, v[9:10]
	v_cmp_gt_i32_e32 vcc_lo, 16, v12
	v_and_b32_e32 v11, 0x80, v11
	v_min_i32_e32 v13, 15, v12
	v_cmp_eq_u32_e64 s0, 0, v12
	v_dual_cndmask_b32 v10, 0, v10 :: v_dual_cndmask_b32 v9, 7, v9
	s_delay_alu instid0(VALU_DEP_3) | instskip(NEXT) | instid1(VALU_DEP_2)
	v_lshl_or_b32 v11, v13, 3, v11
	v_cmp_eq_u64_e32 vcc_lo, 0, v[9:10]
	s_delay_alu instid0(VALU_DEP_2)
	v_and_or_b32 v9, v9, 7, v11
	s_and_b32 s0, s0, vcc_lo
	s_delay_alu instid0(VALU_DEP_1) | instid1(SALU_CYCLE_1)
	v_cndmask_b32_e64 v10, v9, 0, s0
.LBB15_110:                             ;   in Loop: Header=BB15_32 Depth=1
	s_or_b32 exec_lo, exec_lo, s16
.LBB15_111:                             ;   in Loop: Header=BB15_32 Depth=1
	s_and_not1_saveexec_b32 s0, s15
	s_delay_alu instid0(SALU_CYCLE_1)
	s_or_b32 exec_lo, exec_lo, s0
.LBB15_112:                             ;   in Loop: Header=BB15_32 Depth=1
	s_and_not1_saveexec_b32 s0, s14
	s_delay_alu instid0(SALU_CYCLE_1)
	s_or_b32 exec_lo, exec_lo, s0
	s_waitcnt vmcnt(1)
	v_fma_mixlo_f16 v9, v21, v1, 0 op_sel_hi:[0,1,0]
	v_add_nc_u32_e32 v13, 7, v22
	s_mov_b32 s0, exec_lo
	s_waitcnt vmcnt(0)
	s_delay_alu instid0(VALU_DEP_2) | instskip(SKIP_2) | instid1(VALU_DEP_1)
	v_mul_f16_e32 v9, v5, v9
	global_store_b8 v13, v10, s[2:3]
	v_cvt_f32_f16_e32 v9, v9
	v_mul_f32_e32 v9, v23, v9
	s_delay_alu instid0(VALU_DEP_1) | instskip(NEXT) | instid1(VALU_DEP_1)
	v_minmax_f32 v12, v9, s13, 0xc3600000
	v_lshrrev_b32_e32 v11, 24, v12
	v_and_b32_e32 v17, 0x7f800000, v12
	s_delay_alu instid0(VALU_DEP_2) | instskip(NEXT) | instid1(VALU_DEP_2)
	v_or_b32_e32 v9, 0x7f, v11
	v_cmpx_ne_u64_e32 0x7f800000, v[17:18]
	s_xor_b32 s14, exec_lo, s0
	s_cbranch_execz .LBB15_122
; %bb.113:                              ;   in Loop: Header=BB15_32 Depth=1
	v_and_b32_e32 v17, 0x7fffffff, v12
	s_mov_b32 s0, exec_lo
	s_delay_alu instid0(VALU_DEP_1)
	v_cmpx_gt_u64_e32 0x43700001, v[17:18]
	s_xor_b32 s15, exec_lo, s0
	s_cbranch_execz .LBB15_121
; %bb.114:                              ;   in Loop: Header=BB15_32 Depth=1
	v_mov_b32_e32 v9, 0
	s_mov_b32 s16, exec_lo
	v_cmpx_ne_u32_e32 0, v12
	s_cbranch_execz .LBB15_120
; %bb.115:                              ;   in Loop: Header=BB15_32 Depth=1
	v_bfe_u32 v14, v12, 23, 8
	v_and_b32_e32 v10, 0x7fffff, v12
	s_delay_alu instid0(VALU_DEP_2) | instskip(SKIP_2) | instid1(VALU_DEP_3)
	v_sub_nc_u32_e64 v9, 0x78, v14 clamp
	v_cmp_eq_u32_e32 vcc_lo, 0, v14
	v_add_nc_u32_e32 v14, 0xffffff89, v14
	v_cndmask_b32_e64 v19, v9, 0x77, vcc_lo
	v_or_b32_e32 v9, 0x800000, v10
	s_delay_alu instid0(VALU_DEP_1) | instskip(NEXT) | instid1(VALU_DEP_1)
	v_dual_cndmask_b32 v17, v9, v10 :: v_dual_add_nc_u32 v12, 20, v19
	v_lshlrev_b64 v[9:10], v12, -1
	v_add_nc_u32_e32 v12, 19, v19
	s_delay_alu instid0(VALU_DEP_3) | instskip(NEXT) | instid1(VALU_DEP_2)
	v_lshrrev_b64 v[15:16], v19, v[17:18]
	v_lshlrev_b64 v[12:13], v12, 1
	s_delay_alu instid0(VALU_DEP_4) | instskip(NEXT) | instid1(VALU_DEP_1)
	v_not_b32_e32 v9, v9
	v_dual_mov_b32 v10, v18 :: v_dual_and_b32 v9, v17, v9
	s_delay_alu instid0(VALU_DEP_4) | instskip(NEXT) | instid1(VALU_DEP_2)
	v_and_b32_e32 v17, 0x100000, v15
	v_cmp_eq_u64_e64 s0, v[9:10], v[12:13]
	s_delay_alu instid0(VALU_DEP_2) | instskip(SKIP_2) | instid1(VALU_DEP_3)
	v_cmp_eq_u64_e64 s1, 0, v[17:18]
	v_cndmask_b32_e64 v9, v14, 0xffffff8a, vcc_lo
	v_lshrrev_b32_e32 v10, 23, v15
	s_and_b32 vcc_lo, s1, s0
	s_delay_alu instid0(VALU_DEP_1) | instskip(SKIP_2) | instid1(VALU_DEP_2)
	v_add3_u32 v13, v9, v19, v10
	v_subrev_co_ci_u32_e32 v12, vcc_lo, 0, v15, vcc_lo
	s_mov_b32 s0, exec_lo
	v_add_nc_u32_e32 v14, -1, v13
	s_delay_alu instid0(VALU_DEP_2) | instskip(NEXT) | instid1(VALU_DEP_1)
	v_and_b32_e32 v9, 0xfffff, v12
                                        ; implicit-def: $vgpr12
	v_add_co_u32 v9, vcc_lo, v9, v15
	v_add_co_ci_u32_e32 v10, vcc_lo, 0, v16, vcc_lo
	s_delay_alu instid0(VALU_DEP_4)
	v_cmpx_ne_u32_e32 0, v14
	s_xor_b32 s0, exec_lo, s0
; %bb.116:                              ;   in Loop: Header=BB15_32 Depth=1
	s_delay_alu instid0(VALU_DEP_3) | instskip(SKIP_1) | instid1(VALU_DEP_2)
	v_and_b32_e32 v17, 0x1000000, v9
	v_bfe_u32 v12, v9, 24, 1
	v_cmp_eq_u64_e32 vcc_lo, 0, v[17:18]
	s_delay_alu instid0(VALU_DEP_2)
	v_lshrrev_b64 v[9:10], v12, v[9:10]
	v_cndmask_b32_e32 v12, v13, v14, vcc_lo
; %bb.117:                              ;   in Loop: Header=BB15_32 Depth=1
	s_and_not1_saveexec_b32 s0, s0
; %bb.118:                              ;   in Loop: Header=BB15_32 Depth=1
	s_delay_alu instid0(VALU_DEP_2)
	v_bfe_u32 v12, v9, 23, 1
; %bb.119:                              ;   in Loop: Header=BB15_32 Depth=1
	s_or_b32 exec_lo, exec_lo, s0
	s_delay_alu instid0(VALU_DEP_3) | instskip(NEXT) | instid1(VALU_DEP_2)
	v_lshrrev_b64 v[9:10], 20, v[9:10]
	v_cmp_gt_i32_e32 vcc_lo, 16, v12
	v_and_b32_e32 v11, 0x80, v11
	v_min_i32_e32 v13, 15, v12
	v_cmp_eq_u32_e64 s0, 0, v12
	v_dual_cndmask_b32 v10, 0, v10 :: v_dual_cndmask_b32 v9, 7, v9
	s_delay_alu instid0(VALU_DEP_3) | instskip(NEXT) | instid1(VALU_DEP_2)
	v_lshl_or_b32 v11, v13, 3, v11
	v_cmp_eq_u64_e32 vcc_lo, 0, v[9:10]
	s_delay_alu instid0(VALU_DEP_2)
	v_and_or_b32 v9, v9, 7, v11
	s_and_b32 s0, s0, vcc_lo
	s_delay_alu instid0(VALU_DEP_1) | instid1(SALU_CYCLE_1)
	v_cndmask_b32_e64 v9, v9, 0, s0
.LBB15_120:                             ;   in Loop: Header=BB15_32 Depth=1
	s_or_b32 exec_lo, exec_lo, s16
.LBB15_121:                             ;   in Loop: Header=BB15_32 Depth=1
	s_and_not1_saveexec_b32 s0, s15
	s_delay_alu instid0(SALU_CYCLE_1)
	s_or_b32 exec_lo, exec_lo, s0
.LBB15_122:                             ;   in Loop: Header=BB15_32 Depth=1
	s_and_not1_saveexec_b32 s0, s14
	s_delay_alu instid0(SALU_CYCLE_1) | instskip(SKIP_4) | instid1(VALU_DEP_2)
	s_or_b32 exec_lo, exec_lo, s0
	v_lshrrev_b32_e32 v5, 16, v5
	v_fma_mixlo_f16 v1, v21, v1, 0 op_sel:[0,1,0] op_sel_hi:[0,1,0]
	v_add_nc_u32_e32 v11, 8, v22
	s_mov_b32 s0, exec_lo
	v_mul_f16_e32 v1, v5, v1
	global_store_b8 v11, v9, s[2:3]
	v_cvt_f32_f16_e32 v1, v1
	s_delay_alu instid0(VALU_DEP_1) | instskip(NEXT) | instid1(VALU_DEP_1)
	v_mul_f32_e32 v1, v23, v1
	v_minmax_f32 v10, v1, s13, 0xc3600000
	s_delay_alu instid0(VALU_DEP_1) | instskip(SKIP_1) | instid1(VALU_DEP_2)
	v_lshrrev_b32_e32 v1, 24, v10
	v_and_b32_e32 v17, 0x7f800000, v10
	v_or_b32_e32 v5, 0x7f, v1
	s_delay_alu instid0(VALU_DEP_2)
	v_cmpx_ne_u64_e32 0x7f800000, v[17:18]
	s_xor_b32 s14, exec_lo, s0
	s_cbranch_execz .LBB15_132
; %bb.123:                              ;   in Loop: Header=BB15_32 Depth=1
	v_and_b32_e32 v17, 0x7fffffff, v10
	s_mov_b32 s0, exec_lo
	s_delay_alu instid0(VALU_DEP_1)
	v_cmpx_gt_u64_e32 0x43700001, v[17:18]
	s_xor_b32 s15, exec_lo, s0
	s_cbranch_execz .LBB15_131
; %bb.124:                              ;   in Loop: Header=BB15_32 Depth=1
	v_mov_b32_e32 v5, 0
	s_mov_b32 s16, exec_lo
	v_cmpx_ne_u32_e32 0, v10
	s_cbranch_execz .LBB15_130
; %bb.125:                              ;   in Loop: Header=BB15_32 Depth=1
	v_bfe_u32 v5, v10, 23, 8
	v_and_b32_e32 v10, 0x7fffff, v10
	s_delay_alu instid0(VALU_DEP_2) | instskip(SKIP_2) | instid1(VALU_DEP_3)
	v_sub_nc_u32_e64 v9, 0x78, v5 clamp
	v_cmp_eq_u32_e32 vcc_lo, 0, v5
	v_add_nc_u32_e32 v5, 0xffffff89, v5
	v_cndmask_b32_e64 v15, v9, 0x77, vcc_lo
	v_or_b32_e32 v9, 0x800000, v10
	s_delay_alu instid0(VALU_DEP_3) | instskip(NEXT) | instid1(VALU_DEP_3)
	v_cndmask_b32_e64 v5, v5, 0xffffff8a, vcc_lo
	v_add_nc_u32_e32 v11, 20, v15
	s_delay_alu instid0(VALU_DEP_3) | instskip(NEXT) | instid1(VALU_DEP_2)
	v_cndmask_b32_e32 v17, v9, v10, vcc_lo
	v_lshlrev_b64 v[9:10], v11, -1
	v_add_nc_u32_e32 v11, 19, v15
	s_delay_alu instid0(VALU_DEP_3) | instskip(SKIP_1) | instid1(VALU_DEP_3)
	v_lshrrev_b64 v[13:14], v15, v[17:18]
	v_mov_b32_e32 v10, v18
	v_lshlrev_b64 v[11:12], v11, 1
	v_not_b32_e32 v9, v9
	s_delay_alu instid0(VALU_DEP_1) | instskip(SKIP_1) | instid1(VALU_DEP_2)
	v_and_b32_e32 v9, v17, v9
	v_and_b32_e32 v17, 0x100000, v13
	v_cmp_eq_u64_e64 s0, v[9:10], v[11:12]
	s_delay_alu instid0(VALU_DEP_2) | instskip(SKIP_1) | instid1(VALU_DEP_1)
	v_cmp_eq_u64_e64 s1, 0, v[17:18]
	v_lshrrev_b32_e32 v9, 23, v13
	v_add3_u32 v11, v5, v15, v9
	s_delay_alu instid0(VALU_DEP_3) | instskip(SKIP_2) | instid1(VALU_DEP_2)
	s_and_b32 vcc_lo, s1, s0
	s_mov_b32 s0, exec_lo
	v_subrev_co_ci_u32_e32 v10, vcc_lo, 0, v13, vcc_lo
	v_add_nc_u32_e32 v12, -1, v11
	s_delay_alu instid0(VALU_DEP_2) | instskip(NEXT) | instid1(VALU_DEP_1)
	v_and_b32_e32 v5, 0xfffff, v10
	v_add_co_u32 v9, vcc_lo, v5, v13
	v_add_co_ci_u32_e32 v10, vcc_lo, 0, v14, vcc_lo
                                        ; implicit-def: $vgpr5
	s_delay_alu instid0(VALU_DEP_4)
	v_cmpx_ne_u32_e32 0, v12
	s_xor_b32 s0, exec_lo, s0
; %bb.126:                              ;   in Loop: Header=BB15_32 Depth=1
	s_delay_alu instid0(VALU_DEP_3) | instskip(SKIP_1) | instid1(VALU_DEP_2)
	v_and_b32_e32 v17, 0x1000000, v9
	v_bfe_u32 v5, v9, 24, 1
	v_cmp_eq_u64_e32 vcc_lo, 0, v[17:18]
	s_delay_alu instid0(VALU_DEP_2)
	v_lshrrev_b64 v[9:10], v5, v[9:10]
	v_cndmask_b32_e32 v5, v11, v12, vcc_lo
; %bb.127:                              ;   in Loop: Header=BB15_32 Depth=1
	s_and_not1_saveexec_b32 s0, s0
; %bb.128:                              ;   in Loop: Header=BB15_32 Depth=1
	s_delay_alu instid0(VALU_DEP_2)
	v_bfe_u32 v5, v9, 23, 1
; %bb.129:                              ;   in Loop: Header=BB15_32 Depth=1
	s_or_b32 exec_lo, exec_lo, s0
	s_delay_alu instid0(VALU_DEP_3) | instskip(NEXT) | instid1(VALU_DEP_2)
	v_lshrrev_b64 v[9:10], 20, v[9:10]
	v_cmp_gt_i32_e32 vcc_lo, 16, v5
	v_and_b32_e32 v1, 0x80, v1
	v_min_i32_e32 v11, 15, v5
	v_cmp_eq_u32_e64 s0, 0, v5
	v_dual_cndmask_b32 v10, 0, v10 :: v_dual_cndmask_b32 v9, 7, v9
	s_delay_alu instid0(VALU_DEP_3) | instskip(NEXT) | instid1(VALU_DEP_2)
	v_lshl_or_b32 v1, v11, 3, v1
	v_cmp_eq_u64_e32 vcc_lo, 0, v[9:10]
	s_delay_alu instid0(VALU_DEP_2)
	v_and_or_b32 v1, v9, 7, v1
	s_and_b32 s0, s0, vcc_lo
	s_delay_alu instid0(VALU_DEP_1) | instid1(SALU_CYCLE_1)
	v_cndmask_b32_e64 v5, v1, 0, s0
.LBB15_130:                             ;   in Loop: Header=BB15_32 Depth=1
	s_or_b32 exec_lo, exec_lo, s16
.LBB15_131:                             ;   in Loop: Header=BB15_32 Depth=1
	s_and_not1_saveexec_b32 s0, s15
	s_delay_alu instid0(SALU_CYCLE_1)
	s_or_b32 exec_lo, exec_lo, s0
.LBB15_132:                             ;   in Loop: Header=BB15_32 Depth=1
	s_and_not1_saveexec_b32 s0, s14
	s_delay_alu instid0(SALU_CYCLE_1) | instskip(SKIP_3) | instid1(VALU_DEP_2)
	s_or_b32 exec_lo, exec_lo, s0
	v_fma_mixlo_f16 v1, v21, v2, 0 op_sel_hi:[0,1,0]
	v_add_nc_u32_e32 v11, 9, v22
	s_mov_b32 s0, exec_lo
	v_mul_f16_e32 v1, v6, v1
	global_store_b8 v11, v5, s[2:3]
	v_cvt_f32_f16_e32 v1, v1
	s_delay_alu instid0(VALU_DEP_1) | instskip(NEXT) | instid1(VALU_DEP_1)
	v_mul_f32_e32 v1, v23, v1
	v_minmax_f32 v10, v1, s13, 0xc3600000
	s_delay_alu instid0(VALU_DEP_1) | instskip(SKIP_1) | instid1(VALU_DEP_2)
	v_lshrrev_b32_e32 v1, 24, v10
	v_and_b32_e32 v17, 0x7f800000, v10
	v_or_b32_e32 v9, 0x7f, v1
	s_delay_alu instid0(VALU_DEP_2)
	v_cmpx_ne_u64_e32 0x7f800000, v[17:18]
	s_xor_b32 s14, exec_lo, s0
	s_cbranch_execz .LBB15_142
; %bb.133:                              ;   in Loop: Header=BB15_32 Depth=1
	v_and_b32_e32 v17, 0x7fffffff, v10
	s_mov_b32 s0, exec_lo
	s_delay_alu instid0(VALU_DEP_1)
	v_cmpx_gt_u64_e32 0x43700001, v[17:18]
	s_xor_b32 s15, exec_lo, s0
	s_cbranch_execz .LBB15_141
; %bb.134:                              ;   in Loop: Header=BB15_32 Depth=1
	v_mov_b32_e32 v9, 0
	s_mov_b32 s16, exec_lo
	v_cmpx_ne_u32_e32 0, v10
	s_cbranch_execz .LBB15_140
; %bb.135:                              ;   in Loop: Header=BB15_32 Depth=1
	v_bfe_u32 v5, v10, 23, 8
	v_and_b32_e32 v10, 0x7fffff, v10
	s_delay_alu instid0(VALU_DEP_2) | instskip(SKIP_2) | instid1(VALU_DEP_3)
	v_sub_nc_u32_e64 v9, 0x78, v5 clamp
	v_cmp_eq_u32_e32 vcc_lo, 0, v5
	v_add_nc_u32_e32 v5, 0xffffff89, v5
	v_cndmask_b32_e64 v15, v9, 0x77, vcc_lo
	v_or_b32_e32 v9, 0x800000, v10
	s_delay_alu instid0(VALU_DEP_3) | instskip(NEXT) | instid1(VALU_DEP_3)
	v_cndmask_b32_e64 v5, v5, 0xffffff8a, vcc_lo
	v_add_nc_u32_e32 v11, 20, v15
	s_delay_alu instid0(VALU_DEP_3) | instskip(NEXT) | instid1(VALU_DEP_2)
	v_cndmask_b32_e32 v17, v9, v10, vcc_lo
	v_lshlrev_b64 v[9:10], v11, -1
	v_add_nc_u32_e32 v11, 19, v15
	s_delay_alu instid0(VALU_DEP_3) | instskip(SKIP_1) | instid1(VALU_DEP_3)
	v_lshrrev_b64 v[13:14], v15, v[17:18]
	v_mov_b32_e32 v10, v18
	v_lshlrev_b64 v[11:12], v11, 1
	v_not_b32_e32 v9, v9
	s_delay_alu instid0(VALU_DEP_1) | instskip(SKIP_1) | instid1(VALU_DEP_2)
	v_and_b32_e32 v9, v17, v9
	v_and_b32_e32 v17, 0x100000, v13
	v_cmp_eq_u64_e64 s0, v[9:10], v[11:12]
	s_delay_alu instid0(VALU_DEP_2) | instskip(SKIP_1) | instid1(VALU_DEP_1)
	v_cmp_eq_u64_e64 s1, 0, v[17:18]
	v_lshrrev_b32_e32 v9, 23, v13
	v_add3_u32 v11, v5, v15, v9
	s_delay_alu instid0(VALU_DEP_3) | instskip(SKIP_2) | instid1(VALU_DEP_2)
	s_and_b32 vcc_lo, s1, s0
	s_mov_b32 s0, exec_lo
	v_subrev_co_ci_u32_e32 v10, vcc_lo, 0, v13, vcc_lo
	v_add_nc_u32_e32 v12, -1, v11
	s_delay_alu instid0(VALU_DEP_2) | instskip(NEXT) | instid1(VALU_DEP_1)
	v_and_b32_e32 v5, 0xfffff, v10
	v_add_co_u32 v9, vcc_lo, v5, v13
	v_add_co_ci_u32_e32 v10, vcc_lo, 0, v14, vcc_lo
                                        ; implicit-def: $vgpr5
	s_delay_alu instid0(VALU_DEP_4)
	v_cmpx_ne_u32_e32 0, v12
	s_xor_b32 s0, exec_lo, s0
; %bb.136:                              ;   in Loop: Header=BB15_32 Depth=1
	s_delay_alu instid0(VALU_DEP_3) | instskip(SKIP_1) | instid1(VALU_DEP_2)
	v_and_b32_e32 v17, 0x1000000, v9
	v_bfe_u32 v5, v9, 24, 1
	v_cmp_eq_u64_e32 vcc_lo, 0, v[17:18]
	s_delay_alu instid0(VALU_DEP_2)
	v_lshrrev_b64 v[9:10], v5, v[9:10]
	v_cndmask_b32_e32 v5, v11, v12, vcc_lo
; %bb.137:                              ;   in Loop: Header=BB15_32 Depth=1
	s_and_not1_saveexec_b32 s0, s0
; %bb.138:                              ;   in Loop: Header=BB15_32 Depth=1
	s_delay_alu instid0(VALU_DEP_2)
	v_bfe_u32 v5, v9, 23, 1
; %bb.139:                              ;   in Loop: Header=BB15_32 Depth=1
	s_or_b32 exec_lo, exec_lo, s0
	s_delay_alu instid0(VALU_DEP_3) | instskip(NEXT) | instid1(VALU_DEP_2)
	v_lshrrev_b64 v[9:10], 20, v[9:10]
	v_cmp_gt_i32_e32 vcc_lo, 16, v5
	v_and_b32_e32 v1, 0x80, v1
	v_min_i32_e32 v11, 15, v5
	v_cmp_eq_u32_e64 s0, 0, v5
	v_dual_cndmask_b32 v10, 0, v10 :: v_dual_cndmask_b32 v9, 7, v9
	s_delay_alu instid0(VALU_DEP_3) | instskip(NEXT) | instid1(VALU_DEP_2)
	v_lshl_or_b32 v1, v11, 3, v1
	v_cmp_eq_u64_e32 vcc_lo, 0, v[9:10]
	s_delay_alu instid0(VALU_DEP_2)
	v_and_or_b32 v1, v9, 7, v1
	s_and_b32 s0, s0, vcc_lo
	s_delay_alu instid0(VALU_DEP_1) | instid1(SALU_CYCLE_1)
	v_cndmask_b32_e64 v9, v1, 0, s0
.LBB15_140:                             ;   in Loop: Header=BB15_32 Depth=1
	s_or_b32 exec_lo, exec_lo, s16
.LBB15_141:                             ;   in Loop: Header=BB15_32 Depth=1
	s_and_not1_saveexec_b32 s0, s15
	s_delay_alu instid0(SALU_CYCLE_1)
	s_or_b32 exec_lo, exec_lo, s0
.LBB15_142:                             ;   in Loop: Header=BB15_32 Depth=1
	s_and_not1_saveexec_b32 s0, s14
	s_delay_alu instid0(SALU_CYCLE_1) | instskip(SKIP_4) | instid1(VALU_DEP_2)
	s_or_b32 exec_lo, exec_lo, s0
	v_lshrrev_b32_e32 v1, 16, v6
	v_fma_mixlo_f16 v2, v21, v2, 0 op_sel:[0,1,0] op_sel_hi:[0,1,0]
	s_mov_b32 s0, exec_lo
	v_add_nc_u32_e32 v6, 10, v22
	v_mul_f16_e32 v1, v1, v2
	global_store_b8 v6, v9, s[2:3]
	v_cvt_f32_f16_e32 v1, v1
	s_delay_alu instid0(VALU_DEP_1) | instskip(NEXT) | instid1(VALU_DEP_1)
	v_mul_f32_e32 v1, v23, v1
	v_minmax_f32 v1, v1, s13, 0xc3600000
	s_delay_alu instid0(VALU_DEP_1) | instskip(SKIP_1) | instid1(VALU_DEP_2)
	v_lshrrev_b32_e32 v5, 24, v1
	v_and_b32_e32 v17, 0x7f800000, v1
	v_or_b32_e32 v2, 0x7f, v5
	s_delay_alu instid0(VALU_DEP_2)
	v_cmpx_ne_u64_e32 0x7f800000, v[17:18]
	s_xor_b32 s14, exec_lo, s0
	s_cbranch_execz .LBB15_152
; %bb.143:                              ;   in Loop: Header=BB15_32 Depth=1
	v_and_b32_e32 v17, 0x7fffffff, v1
	s_mov_b32 s0, exec_lo
	s_delay_alu instid0(VALU_DEP_1)
	v_cmpx_gt_u64_e32 0x43700001, v[17:18]
	s_xor_b32 s15, exec_lo, s0
	s_cbranch_execz .LBB15_151
; %bb.144:                              ;   in Loop: Header=BB15_32 Depth=1
	v_mov_b32_e32 v2, 0
	s_mov_b32 s16, exec_lo
	v_cmpx_ne_u32_e32 0, v1
	s_cbranch_execz .LBB15_150
; %bb.145:                              ;   in Loop: Header=BB15_32 Depth=1
	v_bfe_u32 v6, v1, 23, 8
	v_and_b32_e32 v1, 0x7fffff, v1
	s_delay_alu instid0(VALU_DEP_2) | instskip(SKIP_2) | instid1(VALU_DEP_3)
	v_sub_nc_u32_e64 v2, 0x78, v6 clamp
	v_cmp_eq_u32_e32 vcc_lo, 0, v6
	v_add_nc_u32_e32 v6, 0xffffff89, v6
	v_cndmask_b32_e64 v13, v2, 0x77, vcc_lo
	v_or_b32_e32 v2, 0x800000, v1
	s_delay_alu instid0(VALU_DEP_2) | instskip(NEXT) | instid1(VALU_DEP_2)
	v_add_nc_u32_e32 v9, 20, v13
	v_cndmask_b32_e32 v17, v2, v1, vcc_lo
	s_delay_alu instid0(VALU_DEP_2) | instskip(SKIP_1) | instid1(VALU_DEP_3)
	v_lshlrev_b64 v[1:2], v9, -1
	v_add_nc_u32_e32 v9, 19, v13
	v_lshrrev_b64 v[11:12], v13, v[17:18]
	v_mov_b32_e32 v2, v18
	s_delay_alu instid0(VALU_DEP_3) | instskip(SKIP_1) | instid1(VALU_DEP_1)
	v_lshlrev_b64 v[9:10], v9, 1
	v_not_b32_e32 v1, v1
	v_and_b32_e32 v1, v17, v1
	v_and_b32_e32 v17, 0x100000, v11
	s_delay_alu instid0(VALU_DEP_2) | instskip(NEXT) | instid1(VALU_DEP_2)
	v_cmp_eq_u64_e64 s0, v[1:2], v[9:10]
	v_cmp_eq_u64_e64 s1, 0, v[17:18]
	v_cndmask_b32_e64 v1, v6, 0xffffff8a, vcc_lo
	v_lshrrev_b32_e32 v2, 23, v11
	s_delay_alu instid0(VALU_DEP_3) | instskip(NEXT) | instid1(VALU_DEP_1)
	s_and_b32 vcc_lo, s1, s0
	v_add3_u32 v9, v1, v13, v2
	v_subrev_co_ci_u32_e32 v6, vcc_lo, 0, v11, vcc_lo
	s_mov_b32 s0, exec_lo
	s_delay_alu instid0(VALU_DEP_2) | instskip(NEXT) | instid1(VALU_DEP_2)
	v_add_nc_u32_e32 v10, -1, v9
	v_and_b32_e32 v1, 0xfffff, v6
                                        ; implicit-def: $vgpr6
	s_delay_alu instid0(VALU_DEP_1) | instskip(SKIP_1) | instid1(VALU_DEP_4)
	v_add_co_u32 v1, vcc_lo, v1, v11
	v_add_co_ci_u32_e32 v2, vcc_lo, 0, v12, vcc_lo
	v_cmpx_ne_u32_e32 0, v10
	s_xor_b32 s0, exec_lo, s0
; %bb.146:                              ;   in Loop: Header=BB15_32 Depth=1
	s_delay_alu instid0(VALU_DEP_3) | instskip(SKIP_1) | instid1(VALU_DEP_2)
	v_and_b32_e32 v17, 0x1000000, v1
	v_bfe_u32 v6, v1, 24, 1
	v_cmp_eq_u64_e32 vcc_lo, 0, v[17:18]
	s_delay_alu instid0(VALU_DEP_2)
	v_lshrrev_b64 v[1:2], v6, v[1:2]
	v_cndmask_b32_e32 v6, v9, v10, vcc_lo
; %bb.147:                              ;   in Loop: Header=BB15_32 Depth=1
	s_and_not1_saveexec_b32 s0, s0
; %bb.148:                              ;   in Loop: Header=BB15_32 Depth=1
	s_delay_alu instid0(VALU_DEP_2)
	v_bfe_u32 v6, v1, 23, 1
; %bb.149:                              ;   in Loop: Header=BB15_32 Depth=1
	s_or_b32 exec_lo, exec_lo, s0
	s_delay_alu instid0(VALU_DEP_3) | instskip(NEXT) | instid1(VALU_DEP_2)
	v_lshrrev_b64 v[1:2], 20, v[1:2]
	v_cmp_gt_i32_e32 vcc_lo, 16, v6
	v_and_b32_e32 v5, 0x80, v5
	v_min_i32_e32 v9, 15, v6
	v_cmp_eq_u32_e64 s0, 0, v6
	v_dual_cndmask_b32 v2, 0, v2 :: v_dual_cndmask_b32 v1, 7, v1
	s_delay_alu instid0(VALU_DEP_3) | instskip(NEXT) | instid1(VALU_DEP_2)
	v_lshl_or_b32 v5, v9, 3, v5
	v_cmp_eq_u64_e32 vcc_lo, 0, v[1:2]
	s_delay_alu instid0(VALU_DEP_2)
	v_and_or_b32 v1, v1, 7, v5
	s_and_b32 s0, s0, vcc_lo
	s_delay_alu instid0(VALU_DEP_1) | instid1(SALU_CYCLE_1)
	v_cndmask_b32_e64 v2, v1, 0, s0
.LBB15_150:                             ;   in Loop: Header=BB15_32 Depth=1
	s_or_b32 exec_lo, exec_lo, s16
.LBB15_151:                             ;   in Loop: Header=BB15_32 Depth=1
	s_and_not1_saveexec_b32 s0, s15
	s_delay_alu instid0(SALU_CYCLE_1)
	s_or_b32 exec_lo, exec_lo, s0
.LBB15_152:                             ;   in Loop: Header=BB15_32 Depth=1
	s_and_not1_saveexec_b32 s0, s14
	s_delay_alu instid0(SALU_CYCLE_1) | instskip(SKIP_3) | instid1(VALU_DEP_2)
	s_or_b32 exec_lo, exec_lo, s0
	v_fma_mixlo_f16 v1, v21, v3, 0 op_sel_hi:[0,1,0]
	v_add_nc_u32_e32 v9, 11, v22
	s_mov_b32 s0, exec_lo
	v_mul_f16_e32 v1, v7, v1
	global_store_b8 v9, v2, s[2:3]
	v_cvt_f32_f16_e32 v1, v1
	s_delay_alu instid0(VALU_DEP_1) | instskip(NEXT) | instid1(VALU_DEP_1)
	v_mul_f32_e32 v1, v23, v1
	v_minmax_f32 v6, v1, s13, 0xc3600000
	s_delay_alu instid0(VALU_DEP_1) | instskip(SKIP_1) | instid1(VALU_DEP_2)
	v_lshrrev_b32_e32 v5, 24, v6
	v_and_b32_e32 v17, 0x7f800000, v6
	v_or_b32_e32 v1, 0x7f, v5
	s_delay_alu instid0(VALU_DEP_2)
	v_cmpx_ne_u64_e32 0x7f800000, v[17:18]
	s_xor_b32 s14, exec_lo, s0
	s_cbranch_execz .LBB15_162
; %bb.153:                              ;   in Loop: Header=BB15_32 Depth=1
	v_and_b32_e32 v17, 0x7fffffff, v6
	s_mov_b32 s0, exec_lo
	s_delay_alu instid0(VALU_DEP_1)
	v_cmpx_gt_u64_e32 0x43700001, v[17:18]
	s_xor_b32 s15, exec_lo, s0
	s_cbranch_execz .LBB15_161
; %bb.154:                              ;   in Loop: Header=BB15_32 Depth=1
	v_mov_b32_e32 v1, 0
	s_mov_b32 s16, exec_lo
	v_cmpx_ne_u32_e32 0, v6
	s_cbranch_execz .LBB15_160
; %bb.155:                              ;   in Loop: Header=BB15_32 Depth=1
	v_bfe_u32 v13, v6, 23, 8
	v_and_b32_e32 v2, 0x7fffff, v6
	s_delay_alu instid0(VALU_DEP_2) | instskip(SKIP_2) | instid1(VALU_DEP_3)
	v_sub_nc_u32_e64 v1, 0x78, v13 clamp
	v_cmp_eq_u32_e32 vcc_lo, 0, v13
	v_add_nc_u32_e32 v13, 0xffffff89, v13
	v_cndmask_b32_e64 v6, v1, 0x77, vcc_lo
	v_or_b32_e32 v1, 0x800000, v2
	s_delay_alu instid0(VALU_DEP_2) | instskip(NEXT) | instid1(VALU_DEP_2)
	v_add_nc_u32_e32 v9, 20, v6
	v_cndmask_b32_e32 v17, v1, v2, vcc_lo
	s_delay_alu instid0(VALU_DEP_2) | instskip(SKIP_1) | instid1(VALU_DEP_3)
	v_lshlrev_b64 v[1:2], v9, -1
	v_add_nc_u32_e32 v9, 19, v6
	v_lshrrev_b64 v[11:12], v6, v[17:18]
	v_mov_b32_e32 v2, v18
	s_delay_alu instid0(VALU_DEP_3) | instskip(SKIP_1) | instid1(VALU_DEP_1)
	v_lshlrev_b64 v[9:10], v9, 1
	v_not_b32_e32 v1, v1
	v_and_b32_e32 v1, v17, v1
	v_and_b32_e32 v17, 0x100000, v11
	s_delay_alu instid0(VALU_DEP_2) | instskip(NEXT) | instid1(VALU_DEP_2)
	v_cmp_eq_u64_e64 s0, v[1:2], v[9:10]
	v_cmp_eq_u64_e64 s1, 0, v[17:18]
	v_cndmask_b32_e64 v1, v13, 0xffffff8a, vcc_lo
	v_lshrrev_b32_e32 v2, 23, v11
	s_delay_alu instid0(VALU_DEP_3) | instskip(NEXT) | instid1(VALU_DEP_1)
	s_and_b32 vcc_lo, s1, s0
	v_add3_u32 v9, v1, v6, v2
	v_subrev_co_ci_u32_e32 v10, vcc_lo, 0, v11, vcc_lo
	s_mov_b32 s0, exec_lo
                                        ; implicit-def: $vgpr6
	s_delay_alu instid0(VALU_DEP_1) | instskip(NEXT) | instid1(VALU_DEP_3)
	v_and_b32_e32 v1, 0xfffff, v10
	v_add_nc_u32_e32 v10, -1, v9
	s_delay_alu instid0(VALU_DEP_2) | instskip(SKIP_1) | instid1(VALU_DEP_3)
	v_add_co_u32 v1, vcc_lo, v1, v11
	v_add_co_ci_u32_e32 v2, vcc_lo, 0, v12, vcc_lo
	v_cmpx_ne_u32_e32 0, v10
	s_xor_b32 s0, exec_lo, s0
; %bb.156:                              ;   in Loop: Header=BB15_32 Depth=1
	s_delay_alu instid0(VALU_DEP_3) | instskip(SKIP_1) | instid1(VALU_DEP_2)
	v_and_b32_e32 v17, 0x1000000, v1
	v_bfe_u32 v6, v1, 24, 1
	v_cmp_eq_u64_e32 vcc_lo, 0, v[17:18]
	s_delay_alu instid0(VALU_DEP_2)
	v_lshrrev_b64 v[1:2], v6, v[1:2]
	v_cndmask_b32_e32 v6, v9, v10, vcc_lo
; %bb.157:                              ;   in Loop: Header=BB15_32 Depth=1
	s_and_not1_saveexec_b32 s0, s0
; %bb.158:                              ;   in Loop: Header=BB15_32 Depth=1
	s_delay_alu instid0(VALU_DEP_2)
	v_bfe_u32 v6, v1, 23, 1
; %bb.159:                              ;   in Loop: Header=BB15_32 Depth=1
	s_or_b32 exec_lo, exec_lo, s0
	s_delay_alu instid0(VALU_DEP_3) | instskip(NEXT) | instid1(VALU_DEP_2)
	v_lshrrev_b64 v[1:2], 20, v[1:2]
	v_cmp_gt_i32_e32 vcc_lo, 16, v6
	v_and_b32_e32 v5, 0x80, v5
	v_min_i32_e32 v9, 15, v6
	v_cmp_eq_u32_e64 s0, 0, v6
	v_dual_cndmask_b32 v2, 0, v2 :: v_dual_cndmask_b32 v1, 7, v1
	s_delay_alu instid0(VALU_DEP_3) | instskip(NEXT) | instid1(VALU_DEP_2)
	v_lshl_or_b32 v5, v9, 3, v5
	v_cmp_eq_u64_e32 vcc_lo, 0, v[1:2]
	s_delay_alu instid0(VALU_DEP_2)
	v_and_or_b32 v1, v1, 7, v5
	s_and_b32 s0, s0, vcc_lo
	s_delay_alu instid0(VALU_DEP_1) | instid1(SALU_CYCLE_1)
	v_cndmask_b32_e64 v1, v1, 0, s0
.LBB15_160:                             ;   in Loop: Header=BB15_32 Depth=1
	s_or_b32 exec_lo, exec_lo, s16
.LBB15_161:                             ;   in Loop: Header=BB15_32 Depth=1
	s_and_not1_saveexec_b32 s0, s15
	s_delay_alu instid0(SALU_CYCLE_1)
	s_or_b32 exec_lo, exec_lo, s0
.LBB15_162:                             ;   in Loop: Header=BB15_32 Depth=1
	s_and_not1_saveexec_b32 s0, s14
	s_delay_alu instid0(SALU_CYCLE_1) | instskip(SKIP_4) | instid1(VALU_DEP_2)
	s_or_b32 exec_lo, exec_lo, s0
	v_lshrrev_b32_e32 v2, 16, v7
	v_fma_mixlo_f16 v3, v21, v3, 0 op_sel:[0,1,0] op_sel_hi:[0,1,0]
	v_add_nc_u32_e32 v6, 12, v22
	s_mov_b32 s0, exec_lo
	v_mul_f16_e32 v2, v2, v3
	global_store_b8 v6, v1, s[2:3]
	v_cvt_f32_f16_e32 v2, v2
	s_delay_alu instid0(VALU_DEP_1) | instskip(NEXT) | instid1(VALU_DEP_1)
	v_mul_f32_e32 v2, v23, v2
	v_minmax_f32 v2, v2, s13, 0xc3600000
	s_delay_alu instid0(VALU_DEP_1) | instskip(SKIP_1) | instid1(VALU_DEP_2)
	v_lshrrev_b32_e32 v3, 24, v2
	v_and_b32_e32 v17, 0x7f800000, v2
	v_or_b32_e32 v5, 0x7f, v3
	s_delay_alu instid0(VALU_DEP_2)
	v_cmpx_ne_u64_e32 0x7f800000, v[17:18]
	s_xor_b32 s14, exec_lo, s0
	s_cbranch_execz .LBB15_172
; %bb.163:                              ;   in Loop: Header=BB15_32 Depth=1
	v_and_b32_e32 v17, 0x7fffffff, v2
	s_mov_b32 s0, exec_lo
	s_delay_alu instid0(VALU_DEP_1)
	v_cmpx_gt_u64_e32 0x43700001, v[17:18]
	s_xor_b32 s15, exec_lo, s0
	s_cbranch_execz .LBB15_171
; %bb.164:                              ;   in Loop: Header=BB15_32 Depth=1
	v_mov_b32_e32 v5, 0
	s_mov_b32 s16, exec_lo
	v_cmpx_ne_u32_e32 0, v2
	s_cbranch_execz .LBB15_170
; %bb.165:                              ;   in Loop: Header=BB15_32 Depth=1
	v_bfe_u32 v7, v2, 23, 8
	v_and_b32_e32 v2, 0x7fffff, v2
	s_delay_alu instid0(VALU_DEP_2) | instskip(SKIP_2) | instid1(VALU_DEP_3)
	v_sub_nc_u32_e64 v1, 0x78, v7 clamp
	v_cmp_eq_u32_e32 vcc_lo, 0, v7
	v_add_nc_u32_e32 v7, 0xffffff89, v7
	v_cndmask_b32_e64 v11, v1, 0x77, vcc_lo
	v_or_b32_e32 v1, 0x800000, v2
	s_delay_alu instid0(VALU_DEP_2) | instskip(NEXT) | instid1(VALU_DEP_2)
	v_add_nc_u32_e32 v5, 20, v11
	v_cndmask_b32_e32 v17, v1, v2, vcc_lo
	s_delay_alu instid0(VALU_DEP_2) | instskip(SKIP_1) | instid1(VALU_DEP_3)
	v_lshlrev_b64 v[1:2], v5, -1
	v_dual_mov_b32 v2, v18 :: v_dual_add_nc_u32 v5, 19, v11
	v_lshrrev_b64 v[9:10], v11, v[17:18]
	s_delay_alu instid0(VALU_DEP_3) | instskip(NEXT) | instid1(VALU_DEP_3)
	v_not_b32_e32 v1, v1
	v_lshlrev_b64 v[5:6], v5, 1
	s_delay_alu instid0(VALU_DEP_2) | instskip(NEXT) | instid1(VALU_DEP_4)
	v_and_b32_e32 v1, v17, v1
	v_and_b32_e32 v17, 0x100000, v9
	s_delay_alu instid0(VALU_DEP_2) | instskip(NEXT) | instid1(VALU_DEP_2)
	v_cmp_eq_u64_e64 s0, v[1:2], v[5:6]
	v_cmp_eq_u64_e64 s1, 0, v[17:18]
	v_cndmask_b32_e64 v1, v7, 0xffffff8a, vcc_lo
	v_lshrrev_b32_e32 v2, 23, v9
	s_delay_alu instid0(VALU_DEP_3) | instskip(NEXT) | instid1(VALU_DEP_1)
	s_and_b32 vcc_lo, s1, s0
	v_add3_u32 v6, v1, v11, v2
	v_subrev_co_ci_u32_e32 v5, vcc_lo, 0, v9, vcc_lo
	s_mov_b32 s0, exec_lo
	s_delay_alu instid0(VALU_DEP_2) | instskip(NEXT) | instid1(VALU_DEP_2)
	v_add_nc_u32_e32 v7, -1, v6
	v_and_b32_e32 v1, 0xfffff, v5
                                        ; implicit-def: $vgpr5
	s_delay_alu instid0(VALU_DEP_1) | instskip(SKIP_1) | instid1(VALU_DEP_4)
	v_add_co_u32 v1, vcc_lo, v1, v9
	v_add_co_ci_u32_e32 v2, vcc_lo, 0, v10, vcc_lo
	v_cmpx_ne_u32_e32 0, v7
	s_xor_b32 s0, exec_lo, s0
; %bb.166:                              ;   in Loop: Header=BB15_32 Depth=1
	s_delay_alu instid0(VALU_DEP_3) | instskip(SKIP_1) | instid1(VALU_DEP_2)
	v_and_b32_e32 v17, 0x1000000, v1
	v_bfe_u32 v5, v1, 24, 1
	v_cmp_eq_u64_e32 vcc_lo, 0, v[17:18]
	s_delay_alu instid0(VALU_DEP_2)
	v_lshrrev_b64 v[1:2], v5, v[1:2]
	v_cndmask_b32_e32 v5, v6, v7, vcc_lo
; %bb.167:                              ;   in Loop: Header=BB15_32 Depth=1
	s_and_not1_saveexec_b32 s0, s0
; %bb.168:                              ;   in Loop: Header=BB15_32 Depth=1
	s_delay_alu instid0(VALU_DEP_2)
	v_bfe_u32 v5, v1, 23, 1
; %bb.169:                              ;   in Loop: Header=BB15_32 Depth=1
	s_or_b32 exec_lo, exec_lo, s0
	s_delay_alu instid0(VALU_DEP_3) | instskip(NEXT) | instid1(VALU_DEP_2)
	v_lshrrev_b64 v[1:2], 20, v[1:2]
	v_cmp_gt_i32_e32 vcc_lo, 16, v5
	v_and_b32_e32 v3, 0x80, v3
	v_min_i32_e32 v6, 15, v5
	v_cmp_eq_u32_e64 s0, 0, v5
	v_dual_cndmask_b32 v2, 0, v2 :: v_dual_cndmask_b32 v1, 7, v1
	s_delay_alu instid0(VALU_DEP_3) | instskip(NEXT) | instid1(VALU_DEP_2)
	v_lshl_or_b32 v3, v6, 3, v3
	v_cmp_eq_u64_e32 vcc_lo, 0, v[1:2]
	s_delay_alu instid0(VALU_DEP_2)
	v_and_or_b32 v1, v1, 7, v3
	s_and_b32 s0, s0, vcc_lo
	s_delay_alu instid0(VALU_DEP_1) | instid1(SALU_CYCLE_1)
	v_cndmask_b32_e64 v5, v1, 0, s0
.LBB15_170:                             ;   in Loop: Header=BB15_32 Depth=1
	s_or_b32 exec_lo, exec_lo, s16
.LBB15_171:                             ;   in Loop: Header=BB15_32 Depth=1
	s_and_not1_saveexec_b32 s0, s15
	s_delay_alu instid0(SALU_CYCLE_1)
	s_or_b32 exec_lo, exec_lo, s0
.LBB15_172:                             ;   in Loop: Header=BB15_32 Depth=1
	s_and_not1_saveexec_b32 s0, s14
	s_delay_alu instid0(SALU_CYCLE_1) | instskip(SKIP_3) | instid1(VALU_DEP_2)
	s_or_b32 exec_lo, exec_lo, s0
	v_fma_mixlo_f16 v1, v21, v4, 0 op_sel_hi:[0,1,0]
	s_mov_b32 s0, exec_lo
	v_add_nc_u32_e32 v6, 13, v22
	v_mul_f16_e32 v1, v8, v1
	global_store_b8 v6, v5, s[2:3]
	v_cvt_f32_f16_e32 v1, v1
	s_delay_alu instid0(VALU_DEP_1) | instskip(NEXT) | instid1(VALU_DEP_1)
	v_mul_f32_e32 v1, v23, v1
	v_minmax_f32 v1, v1, s13, 0xc3600000
	s_delay_alu instid0(VALU_DEP_1) | instskip(SKIP_1) | instid1(VALU_DEP_2)
	v_lshrrev_b32_e32 v3, 24, v1
	v_and_b32_e32 v17, 0x7f800000, v1
	v_or_b32_e32 v2, 0x7f, v3
	s_delay_alu instid0(VALU_DEP_2)
	v_cmpx_ne_u64_e32 0x7f800000, v[17:18]
	s_xor_b32 s14, exec_lo, s0
	s_cbranch_execz .LBB15_182
; %bb.173:                              ;   in Loop: Header=BB15_32 Depth=1
	v_and_b32_e32 v17, 0x7fffffff, v1
	s_mov_b32 s0, exec_lo
	s_delay_alu instid0(VALU_DEP_1)
	v_cmpx_gt_u64_e32 0x43700001, v[17:18]
	s_xor_b32 s15, exec_lo, s0
	s_cbranch_execz .LBB15_181
; %bb.174:                              ;   in Loop: Header=BB15_32 Depth=1
	v_mov_b32_e32 v2, 0
	s_mov_b32 s16, exec_lo
	v_cmpx_ne_u32_e32 0, v1
	s_cbranch_execz .LBB15_180
; %bb.175:                              ;   in Loop: Header=BB15_32 Depth=1
	v_bfe_u32 v7, v1, 23, 8
	v_and_b32_e32 v1, 0x7fffff, v1
	s_delay_alu instid0(VALU_DEP_2) | instskip(SKIP_2) | instid1(VALU_DEP_3)
	v_sub_nc_u32_e64 v2, 0x78, v7 clamp
	v_cmp_eq_u32_e32 vcc_lo, 0, v7
	v_add_nc_u32_e32 v7, 0xffffff89, v7
	v_cndmask_b32_e64 v11, v2, 0x77, vcc_lo
	v_or_b32_e32 v2, 0x800000, v1
	s_delay_alu instid0(VALU_DEP_2) | instskip(NEXT) | instid1(VALU_DEP_2)
	v_add_nc_u32_e32 v5, 20, v11
	v_cndmask_b32_e32 v17, v2, v1, vcc_lo
	s_delay_alu instid0(VALU_DEP_2) | instskip(SKIP_1) | instid1(VALU_DEP_3)
	v_lshlrev_b64 v[1:2], v5, -1
	v_dual_mov_b32 v2, v18 :: v_dual_add_nc_u32 v5, 19, v11
	v_lshrrev_b64 v[9:10], v11, v[17:18]
	s_delay_alu instid0(VALU_DEP_3) | instskip(NEXT) | instid1(VALU_DEP_3)
	v_not_b32_e32 v1, v1
	v_lshlrev_b64 v[5:6], v5, 1
	s_delay_alu instid0(VALU_DEP_2) | instskip(NEXT) | instid1(VALU_DEP_4)
	v_and_b32_e32 v1, v17, v1
	v_and_b32_e32 v17, 0x100000, v9
	s_delay_alu instid0(VALU_DEP_2) | instskip(NEXT) | instid1(VALU_DEP_2)
	v_cmp_eq_u64_e64 s0, v[1:2], v[5:6]
	v_cmp_eq_u64_e64 s1, 0, v[17:18]
	v_cndmask_b32_e64 v1, v7, 0xffffff8a, vcc_lo
	v_lshrrev_b32_e32 v2, 23, v9
	s_delay_alu instid0(VALU_DEP_3) | instskip(NEXT) | instid1(VALU_DEP_1)
	s_and_b32 vcc_lo, s1, s0
	v_add3_u32 v6, v1, v11, v2
	v_subrev_co_ci_u32_e32 v5, vcc_lo, 0, v9, vcc_lo
	s_mov_b32 s0, exec_lo
	s_delay_alu instid0(VALU_DEP_2) | instskip(NEXT) | instid1(VALU_DEP_2)
	v_add_nc_u32_e32 v7, -1, v6
	v_and_b32_e32 v1, 0xfffff, v5
                                        ; implicit-def: $vgpr5
	s_delay_alu instid0(VALU_DEP_1) | instskip(SKIP_1) | instid1(VALU_DEP_4)
	v_add_co_u32 v1, vcc_lo, v1, v9
	v_add_co_ci_u32_e32 v2, vcc_lo, 0, v10, vcc_lo
	v_cmpx_ne_u32_e32 0, v7
	s_xor_b32 s0, exec_lo, s0
; %bb.176:                              ;   in Loop: Header=BB15_32 Depth=1
	s_delay_alu instid0(VALU_DEP_3) | instskip(SKIP_1) | instid1(VALU_DEP_2)
	v_and_b32_e32 v17, 0x1000000, v1
	v_bfe_u32 v5, v1, 24, 1
	v_cmp_eq_u64_e32 vcc_lo, 0, v[17:18]
	s_delay_alu instid0(VALU_DEP_2)
	v_lshrrev_b64 v[1:2], v5, v[1:2]
	v_cndmask_b32_e32 v5, v6, v7, vcc_lo
; %bb.177:                              ;   in Loop: Header=BB15_32 Depth=1
	s_and_not1_saveexec_b32 s0, s0
; %bb.178:                              ;   in Loop: Header=BB15_32 Depth=1
	s_delay_alu instid0(VALU_DEP_2)
	v_bfe_u32 v5, v1, 23, 1
; %bb.179:                              ;   in Loop: Header=BB15_32 Depth=1
	s_or_b32 exec_lo, exec_lo, s0
	s_delay_alu instid0(VALU_DEP_3) | instskip(NEXT) | instid1(VALU_DEP_2)
	v_lshrrev_b64 v[1:2], 20, v[1:2]
	v_cmp_gt_i32_e32 vcc_lo, 16, v5
	v_and_b32_e32 v3, 0x80, v3
	v_min_i32_e32 v6, 15, v5
	v_cmp_eq_u32_e64 s0, 0, v5
	v_dual_cndmask_b32 v2, 0, v2 :: v_dual_cndmask_b32 v1, 7, v1
	s_delay_alu instid0(VALU_DEP_3) | instskip(NEXT) | instid1(VALU_DEP_2)
	v_lshl_or_b32 v3, v6, 3, v3
	v_cmp_eq_u64_e32 vcc_lo, 0, v[1:2]
	s_delay_alu instid0(VALU_DEP_2)
	v_and_or_b32 v1, v1, 7, v3
	s_and_b32 s0, s0, vcc_lo
	s_delay_alu instid0(VALU_DEP_1) | instid1(SALU_CYCLE_1)
	v_cndmask_b32_e64 v2, v1, 0, s0
.LBB15_180:                             ;   in Loop: Header=BB15_32 Depth=1
	s_or_b32 exec_lo, exec_lo, s16
.LBB15_181:                             ;   in Loop: Header=BB15_32 Depth=1
	s_and_not1_saveexec_b32 s0, s15
	s_delay_alu instid0(SALU_CYCLE_1)
	s_or_b32 exec_lo, exec_lo, s0
.LBB15_182:                             ;   in Loop: Header=BB15_32 Depth=1
	s_and_not1_saveexec_b32 s0, s14
	s_delay_alu instid0(SALU_CYCLE_1) | instskip(SKIP_4) | instid1(VALU_DEP_2)
	s_or_b32 exec_lo, exec_lo, s0
	v_lshrrev_b32_e32 v1, 16, v8
	v_fma_mixlo_f16 v3, v21, v4, 0 op_sel:[0,1,0] op_sel_hi:[0,1,0]
	v_add_nc_u32_e32 v5, 14, v22
	s_mov_b32 s0, exec_lo
	v_mul_f16_e32 v1, v1, v3
	global_store_b8 v5, v2, s[2:3]
	v_cvt_f32_f16_e32 v1, v1
	s_delay_alu instid0(VALU_DEP_1) | instskip(NEXT) | instid1(VALU_DEP_1)
	v_mul_f32_e32 v1, v23, v1
	v_minmax_f32 v4, v1, s13, 0xc3600000
	s_delay_alu instid0(VALU_DEP_1) | instskip(SKIP_1) | instid1(VALU_DEP_2)
	v_lshrrev_b32_e32 v3, 24, v4
	v_and_b32_e32 v17, 0x7f800000, v4
	v_or_b32_e32 v1, 0x7f, v3
	s_delay_alu instid0(VALU_DEP_2)
	v_cmpx_ne_u64_e32 0x7f800000, v[17:18]
	s_xor_b32 s14, exec_lo, s0
	s_cbranch_execz .LBB15_31
; %bb.183:                              ;   in Loop: Header=BB15_32 Depth=1
	v_and_b32_e32 v17, 0x7fffffff, v4
	s_mov_b32 s0, exec_lo
	s_delay_alu instid0(VALU_DEP_1)
	v_cmpx_gt_u64_e32 0x43700001, v[17:18]
	s_xor_b32 s15, exec_lo, s0
	s_cbranch_execz .LBB15_30
; %bb.184:                              ;   in Loop: Header=BB15_32 Depth=1
	v_mov_b32_e32 v1, 0
	s_mov_b32 s16, exec_lo
	v_cmpx_ne_u32_e32 0, v4
	s_cbranch_execz .LBB15_29
; %bb.185:                              ;   in Loop: Header=BB15_32 Depth=1
	v_bfe_u32 v6, v4, 23, 8
	v_and_b32_e32 v2, 0x7fffff, v4
	s_delay_alu instid0(VALU_DEP_2) | instskip(SKIP_2) | instid1(VALU_DEP_3)
	v_sub_nc_u32_e64 v1, 0x78, v6 clamp
	v_cmp_eq_u32_e32 vcc_lo, 0, v6
	v_add_nc_u32_e32 v6, 0xffffff89, v6
	v_cndmask_b32_e64 v9, v1, 0x77, vcc_lo
	v_or_b32_e32 v1, 0x800000, v2
	s_delay_alu instid0(VALU_DEP_1) | instskip(NEXT) | instid1(VALU_DEP_1)
	v_dual_cndmask_b32 v17, v1, v2 :: v_dual_add_nc_u32 v4, 20, v9
	v_lshlrev_b64 v[1:2], v4, -1
	v_add_nc_u32_e32 v4, 19, v9
	s_delay_alu instid0(VALU_DEP_3) | instskip(NEXT) | instid1(VALU_DEP_2)
	v_lshrrev_b64 v[7:8], v9, v[17:18]
	v_lshlrev_b64 v[4:5], v4, 1
	s_delay_alu instid0(VALU_DEP_4) | instskip(NEXT) | instid1(VALU_DEP_1)
	v_not_b32_e32 v1, v1
	v_dual_mov_b32 v2, v18 :: v_dual_and_b32 v1, v17, v1
	s_delay_alu instid0(VALU_DEP_4) | instskip(NEXT) | instid1(VALU_DEP_2)
	v_and_b32_e32 v17, 0x100000, v7
	v_cmp_eq_u64_e64 s0, v[1:2], v[4:5]
	s_delay_alu instid0(VALU_DEP_2) | instskip(SKIP_2) | instid1(VALU_DEP_3)
	v_cmp_eq_u64_e64 s1, 0, v[17:18]
	v_cndmask_b32_e64 v1, v6, 0xffffff8a, vcc_lo
	v_lshrrev_b32_e32 v2, 23, v7
	s_and_b32 vcc_lo, s1, s0
	s_delay_alu instid0(VALU_DEP_1) | instskip(SKIP_2) | instid1(VALU_DEP_2)
	v_add3_u32 v5, v1, v9, v2
	v_subrev_co_ci_u32_e32 v4, vcc_lo, 0, v7, vcc_lo
	s_mov_b32 s0, exec_lo
	v_add_nc_u32_e32 v6, -1, v5
	s_delay_alu instid0(VALU_DEP_2) | instskip(NEXT) | instid1(VALU_DEP_1)
	v_and_b32_e32 v1, 0xfffff, v4
                                        ; implicit-def: $vgpr4
	v_add_co_u32 v1, vcc_lo, v1, v7
	v_add_co_ci_u32_e32 v2, vcc_lo, 0, v8, vcc_lo
	s_delay_alu instid0(VALU_DEP_4)
	v_cmpx_ne_u32_e32 0, v6
	s_xor_b32 s0, exec_lo, s0
; %bb.186:                              ;   in Loop: Header=BB15_32 Depth=1
	s_delay_alu instid0(VALU_DEP_3) | instskip(SKIP_1) | instid1(VALU_DEP_2)
	v_and_b32_e32 v17, 0x1000000, v1
	v_bfe_u32 v4, v1, 24, 1
	v_cmp_eq_u64_e32 vcc_lo, 0, v[17:18]
	s_delay_alu instid0(VALU_DEP_2)
	v_lshrrev_b64 v[1:2], v4, v[1:2]
	v_cndmask_b32_e32 v4, v5, v6, vcc_lo
; %bb.187:                              ;   in Loop: Header=BB15_32 Depth=1
	s_and_not1_saveexec_b32 s0, s0
	s_cbranch_execz .LBB15_28
; %bb.188:                              ;   in Loop: Header=BB15_32 Depth=1
	s_delay_alu instid0(VALU_DEP_2)
	v_bfe_u32 v4, v1, 23, 1
	s_branch .LBB15_28
.LBB15_189:
	s_nop 0
	s_sendmsg sendmsg(MSG_DEALLOC_VGPRS)
	s_endpgm
	.section	.rodata,"a",@progbits
	.p2align	6, 0x0
	.amdhsa_kernel _ZN4vllm32rms_norm_static_fp8_quant_kernelIN3c104HalfENS1_15Float8_e4m3fnuzELi16EEEvPT0_PKT_iS8_PKffii
		.amdhsa_group_segment_fixed_size 132
		.amdhsa_private_segment_fixed_size 0
		.amdhsa_kernarg_size 312
		.amdhsa_user_sgpr_count 15
		.amdhsa_user_sgpr_dispatch_ptr 0
		.amdhsa_user_sgpr_queue_ptr 0
		.amdhsa_user_sgpr_kernarg_segment_ptr 1
		.amdhsa_user_sgpr_dispatch_id 0
		.amdhsa_user_sgpr_private_segment_size 0
		.amdhsa_wavefront_size32 1
		.amdhsa_uses_dynamic_stack 0
		.amdhsa_enable_private_segment 0
		.amdhsa_system_sgpr_workgroup_id_x 1
		.amdhsa_system_sgpr_workgroup_id_y 0
		.amdhsa_system_sgpr_workgroup_id_z 0
		.amdhsa_system_sgpr_workgroup_info 0
		.amdhsa_system_vgpr_workitem_id 0
		.amdhsa_next_free_vgpr 32
		.amdhsa_next_free_sgpr 20
		.amdhsa_reserve_vcc 1
		.amdhsa_float_round_mode_32 0
		.amdhsa_float_round_mode_16_64 0
		.amdhsa_float_denorm_mode_32 3
		.amdhsa_float_denorm_mode_16_64 3
		.amdhsa_dx10_clamp 1
		.amdhsa_ieee_mode 1
		.amdhsa_fp16_overflow 0
		.amdhsa_workgroup_processor_mode 1
		.amdhsa_memory_ordered 1
		.amdhsa_forward_progress 0
		.amdhsa_shared_vgpr_count 0
		.amdhsa_exception_fp_ieee_invalid_op 0
		.amdhsa_exception_fp_denorm_src 0
		.amdhsa_exception_fp_ieee_div_zero 0
		.amdhsa_exception_fp_ieee_overflow 0
		.amdhsa_exception_fp_ieee_underflow 0
		.amdhsa_exception_fp_ieee_inexact 0
		.amdhsa_exception_int_div_zero 0
	.end_amdhsa_kernel
	.section	.text._ZN4vllm32rms_norm_static_fp8_quant_kernelIN3c104HalfENS1_15Float8_e4m3fnuzELi16EEEvPT0_PKT_iS8_PKffii,"axG",@progbits,_ZN4vllm32rms_norm_static_fp8_quant_kernelIN3c104HalfENS1_15Float8_e4m3fnuzELi16EEEvPT0_PKT_iS8_PKffii,comdat
.Lfunc_end15:
	.size	_ZN4vllm32rms_norm_static_fp8_quant_kernelIN3c104HalfENS1_15Float8_e4m3fnuzELi16EEEvPT0_PKT_iS8_PKffii, .Lfunc_end15-_ZN4vllm32rms_norm_static_fp8_quant_kernelIN3c104HalfENS1_15Float8_e4m3fnuzELi16EEEvPT0_PKT_iS8_PKffii
                                        ; -- End function
	.section	.AMDGPU.csdata,"",@progbits
; Kernel info:
; codeLenInByte = 11136
; NumSgprs: 22
; NumVgprs: 32
; ScratchSize: 0
; MemoryBound: 0
; FloatMode: 240
; IeeeMode: 1
; LDSByteSize: 132 bytes/workgroup (compile time only)
; SGPRBlocks: 2
; VGPRBlocks: 3
; NumSGPRsForWavesPerEU: 22
; NumVGPRsForWavesPerEU: 32
; Occupancy: 16
; WaveLimiterHint : 0
; COMPUTE_PGM_RSRC2:SCRATCH_EN: 0
; COMPUTE_PGM_RSRC2:USER_SGPR: 15
; COMPUTE_PGM_RSRC2:TRAP_HANDLER: 0
; COMPUTE_PGM_RSRC2:TGID_X_EN: 1
; COMPUTE_PGM_RSRC2:TGID_Y_EN: 0
; COMPUTE_PGM_RSRC2:TGID_Z_EN: 0
; COMPUTE_PGM_RSRC2:TIDIG_COMP_CNT: 0
	.section	.text._ZN4vllm32rms_norm_static_fp8_quant_kernelIN3c104HalfENS1_15Float8_e4m3fnuzELi8EEEvPT0_PKT_iS8_PKffii,"axG",@progbits,_ZN4vllm32rms_norm_static_fp8_quant_kernelIN3c104HalfENS1_15Float8_e4m3fnuzELi8EEEvPT0_PKT_iS8_PKffii,comdat
	.protected	_ZN4vllm32rms_norm_static_fp8_quant_kernelIN3c104HalfENS1_15Float8_e4m3fnuzELi8EEEvPT0_PKT_iS8_PKffii ; -- Begin function _ZN4vllm32rms_norm_static_fp8_quant_kernelIN3c104HalfENS1_15Float8_e4m3fnuzELi8EEEvPT0_PKT_iS8_PKffii
	.globl	_ZN4vllm32rms_norm_static_fp8_quant_kernelIN3c104HalfENS1_15Float8_e4m3fnuzELi8EEEvPT0_PKT_iS8_PKffii
	.p2align	8
	.type	_ZN4vllm32rms_norm_static_fp8_quant_kernelIN3c104HalfENS1_15Float8_e4m3fnuzELi8EEEvPT0_PKT_iS8_PKffii,@function
_ZN4vllm32rms_norm_static_fp8_quant_kernelIN3c104HalfENS1_15Float8_e4m3fnuzELi8EEEvPT0_PKT_iS8_PKffii: ; @_ZN4vllm32rms_norm_static_fp8_quant_kernelIN3c104HalfENS1_15Float8_e4m3fnuzELi8EEEvPT0_PKT_iS8_PKffii
; %bb.0:
	s_clause 0x3
	s_load_b32 s2, s[0:1], 0x10
	s_load_b64 s[4:5], s[0:1], 0x8
	s_load_b32 s8, s[0:1], 0x44
	s_load_b32 s13, s[0:1], 0x30
	s_mov_b32 s3, 0
	s_waitcnt lgkmcnt(0)
	s_mul_i32 s2, s15, s2
	s_delay_alu instid0(SALU_CYCLE_1) | instskip(NEXT) | instid1(SALU_CYCLE_1)
	s_lshl_b64 s[6:7], s[2:3], 1
	s_add_u32 s10, s4, s6
	s_addc_u32 s11, s5, s7
	s_and_b32 s2, s10, 15
	s_and_b32 s12, s8, 0xffff
	s_cmp_lg_u64 s[2:3], 0
	s_cselect_b32 s2, -1, 0
	s_and_b32 s3, s13, 7
	s_delay_alu instid0(SALU_CYCLE_1) | instskip(SKIP_1) | instid1(SALU_CYCLE_1)
	s_cmp_lg_u32 s3, 0
	s_cselect_b32 s3, -1, 0
	s_or_b32 s2, s2, s3
	s_delay_alu instid0(SALU_CYCLE_1)
	s_and_b32 vcc_lo, exec_lo, s2
	s_cbranch_vccz .LBB16_14
; %bb.1:
	s_sub_i32 s2, 0, s10
	v_mov_b32_e32 v4, 0
	s_bfe_u32 s2, s2, 0x30001
	s_mov_b32 s3, exec_lo
	s_min_i32 s8, s2, s13
	s_delay_alu instid0(SALU_CYCLE_1)
	v_cmpx_gt_i32_e64 s8, v0
	s_cbranch_execz .LBB16_5
; %bb.2:
	v_dual_mov_b32 v4, 0 :: v_dual_lshlrev_b32 v1, 1, v0
	s_add_u32 s2, s4, s6
	s_addc_u32 s9, s5, s7
	v_mov_b32_e32 v3, v0
	s_delay_alu instid0(VALU_DEP_2) | instskip(NEXT) | instid1(VALU_DEP_1)
	v_add_co_u32 v1, s2, s2, v1
	v_add_co_ci_u32_e64 v2, null, s9, 0, s2
	s_mov_b32 s9, 0
	s_lshl_b32 s14, s12, 1
.LBB16_3:                               ; =>This Inner Loop Header: Depth=1
	global_load_u16 v5, v[1:2], off
	v_add_nc_u32_e32 v3, s12, v3
	v_add_co_u32 v1, vcc_lo, v1, s14
	v_add_co_ci_u32_e32 v2, vcc_lo, 0, v2, vcc_lo
	s_delay_alu instid0(VALU_DEP_3) | instskip(NEXT) | instid1(VALU_DEP_1)
	v_cmp_le_i32_e64 s2, s8, v3
	s_or_b32 s9, s2, s9
	s_waitcnt vmcnt(0)
	v_fma_mix_f32 v4, v5, v5, v4 op_sel_hi:[1,1,0]
	s_and_not1_b32 exec_lo, exec_lo, s9
	s_cbranch_execnz .LBB16_3
; %bb.4:
	s_or_b32 exec_lo, exec_lo, s9
.LBB16_5:
	s_delay_alu instid0(SALU_CYCLE_1)
	s_or_b32 exec_lo, exec_lo, s3
	s_sub_i32 s3, s13, s8
	s_ashr_i32 s9, s8, 31
	s_ashr_i32 s2, s3, 31
	s_mov_b32 s16, exec_lo
	s_lshr_b32 s2, s2, 29
	s_delay_alu instid0(SALU_CYCLE_1) | instskip(NEXT) | instid1(SALU_CYCLE_1)
	s_add_i32 s2, s3, s2
	s_ashr_i32 s14, s2, 3
	s_delay_alu instid0(SALU_CYCLE_1)
	v_cmpx_gt_i32_e64 s14, v0
	s_cbranch_execz .LBB16_9
; %bb.6:
	v_lshlrev_b32_e32 v1, 4, v0
	s_lshl_b64 s[18:19], s[8:9], 1
	s_add_u32 s2, s4, s6
	s_addc_u32 s17, s5, s7
	s_add_u32 s2, s2, s18
	s_addc_u32 s17, s17, s19
	v_add_co_u32 v1, s2, s2, v1
	s_delay_alu instid0(VALU_DEP_1)
	v_add_co_ci_u32_e64 v2, null, s17, 0, s2
	v_mov_b32_e32 v3, v0
	s_mov_b32 s17, 0
	s_lshl_b32 s18, s12, 4
	.p2align	6
.LBB16_7:                               ; =>This Inner Loop Header: Depth=1
	global_load_b128 v[5:8], v[1:2], off
	v_add_nc_u32_e32 v3, s12, v3
	v_add_co_u32 v1, vcc_lo, v1, s18
	v_add_co_ci_u32_e32 v2, vcc_lo, 0, v2, vcc_lo
	s_delay_alu instid0(VALU_DEP_3) | instskip(NEXT) | instid1(VALU_DEP_1)
	v_cmp_le_i32_e64 s2, s14, v3
	s_or_b32 s17, s2, s17
	s_waitcnt vmcnt(0)
	v_fma_mix_f32 v4, v5, v5, v4 op_sel_hi:[1,1,0]
	s_delay_alu instid0(VALU_DEP_1) | instskip(NEXT) | instid1(VALU_DEP_1)
	v_fma_mix_f32 v4, v5, v5, v4 op_sel:[1,1,0] op_sel_hi:[1,1,0]
	v_fma_mix_f32 v4, v6, v6, v4 op_sel_hi:[1,1,0]
	s_delay_alu instid0(VALU_DEP_1) | instskip(NEXT) | instid1(VALU_DEP_1)
	v_fma_mix_f32 v4, v6, v6, v4 op_sel:[1,1,0] op_sel_hi:[1,1,0]
	;; [unrolled: 3-line block ×3, first 2 shown]
	v_fma_mix_f32 v4, v8, v8, v4 op_sel_hi:[1,1,0]
	s_delay_alu instid0(VALU_DEP_1)
	v_fma_mix_f32 v4, v8, v8, v4 op_sel:[1,1,0] op_sel_hi:[1,1,0]
	s_and_not1_b32 exec_lo, exec_lo, s17
	s_cbranch_execnz .LBB16_7
; %bb.8:
	s_or_b32 exec_lo, exec_lo, s17
.LBB16_9:
	s_delay_alu instid0(SALU_CYCLE_1) | instskip(SKIP_2) | instid1(VALU_DEP_1)
	s_or_b32 exec_lo, exec_lo, s16
	v_lshl_add_u32 v1, s14, 3, v0
	s_mov_b32 s14, exec_lo
	v_cmpx_gt_i32_e64 s3, v1
	s_cbranch_execz .LBB16_13
; %bb.10:
	v_ashrrev_i32_e32 v2, 31, v1
	s_lshl_b64 s[8:9], s[8:9], 1
	s_add_u32 s2, s4, s6
	s_addc_u32 s16, s5, s7
	s_add_u32 s2, s2, s8
	v_lshlrev_b64 v[2:3], 1, v[1:2]
	s_addc_u32 s8, s16, s9
	s_lshl_b32 s9, s12, 1
	s_delay_alu instid0(VALU_DEP_1) | instskip(NEXT) | instid1(VALU_DEP_2)
	v_add_co_u32 v2, vcc_lo, s2, v2
	v_add_co_ci_u32_e32 v3, vcc_lo, s8, v3, vcc_lo
	s_mov_b32 s8, 0
.LBB16_11:                              ; =>This Inner Loop Header: Depth=1
	global_load_u16 v5, v[2:3], off
	v_add_nc_u32_e32 v1, s12, v1
	v_add_co_u32 v2, vcc_lo, v2, s9
	v_add_co_ci_u32_e32 v3, vcc_lo, 0, v3, vcc_lo
	s_delay_alu instid0(VALU_DEP_3) | instskip(NEXT) | instid1(VALU_DEP_1)
	v_cmp_le_i32_e64 s2, s3, v1
	s_or_b32 s8, s2, s8
	s_waitcnt vmcnt(0)
	v_fma_mix_f32 v4, v5, v5, v4 op_sel_hi:[1,1,0]
	s_and_not1_b32 exec_lo, exec_lo, s8
	s_cbranch_execnz .LBB16_11
; %bb.12:
	s_or_b32 exec_lo, exec_lo, s8
.LBB16_13:
	s_delay_alu instid0(SALU_CYCLE_1)
	s_or_b32 exec_lo, exec_lo, s14
	s_branch .LBB16_20
.LBB16_14:
                                        ; implicit-def: $vgpr4
	s_cbranch_execz .LBB16_20
; %bb.15:
	v_mov_b32_e32 v4, 0
	s_ashr_i32 s8, s13, 3
	s_mov_b32 s3, exec_lo
	v_cmpx_gt_i32_e64 s8, v0
	s_cbranch_execz .LBB16_19
; %bb.16:
	v_dual_mov_b32 v4, 0 :: v_dual_lshlrev_b32 v1, 4, v0
	s_add_u32 s2, s4, s6
	s_addc_u32 s4, s5, s7
	v_mov_b32_e32 v3, v0
	s_delay_alu instid0(VALU_DEP_2) | instskip(NEXT) | instid1(VALU_DEP_1)
	v_add_co_u32 v1, s2, s2, v1
	v_add_co_ci_u32_e64 v2, null, s4, 0, s2
	s_mov_b32 s4, 0
	s_lshl_b32 s5, s12, 4
	.p2align	6
.LBB16_17:                              ; =>This Inner Loop Header: Depth=1
	global_load_b128 v[5:8], v[1:2], off
	v_add_nc_u32_e32 v3, s12, v3
	v_add_co_u32 v1, vcc_lo, v1, s5
	v_add_co_ci_u32_e32 v2, vcc_lo, 0, v2, vcc_lo
	s_delay_alu instid0(VALU_DEP_3) | instskip(NEXT) | instid1(VALU_DEP_1)
	v_cmp_le_i32_e64 s2, s8, v3
	s_or_b32 s4, s2, s4
	s_waitcnt vmcnt(0)
	v_fma_mix_f32 v4, v5, v5, v4 op_sel_hi:[1,1,0]
	s_delay_alu instid0(VALU_DEP_1) | instskip(NEXT) | instid1(VALU_DEP_1)
	v_fma_mix_f32 v4, v5, v5, v4 op_sel:[1,1,0] op_sel_hi:[1,1,0]
	v_fma_mix_f32 v4, v6, v6, v4 op_sel_hi:[1,1,0]
	s_delay_alu instid0(VALU_DEP_1) | instskip(NEXT) | instid1(VALU_DEP_1)
	v_fma_mix_f32 v4, v6, v6, v4 op_sel:[1,1,0] op_sel_hi:[1,1,0]
	;; [unrolled: 3-line block ×3, first 2 shown]
	v_fma_mix_f32 v4, v8, v8, v4 op_sel_hi:[1,1,0]
	s_delay_alu instid0(VALU_DEP_1)
	v_fma_mix_f32 v4, v8, v8, v4 op_sel:[1,1,0] op_sel_hi:[1,1,0]
	s_and_not1_b32 exec_lo, exec_lo, s4
	s_cbranch_execnz .LBB16_17
; %bb.18:
	s_or_b32 exec_lo, exec_lo, s4
.LBB16_19:
	s_delay_alu instid0(SALU_CYCLE_1)
	s_or_b32 exec_lo, exec_lo, s3
.LBB16_20:
	v_mbcnt_lo_u32_b32 v1, -1, 0
	v_and_b32_e32 v3, 0x3e0, v0
	s_mov_b32 s2, exec_lo
	s_delay_alu instid0(VALU_DEP_2) | instskip(NEXT) | instid1(VALU_DEP_2)
	v_cmp_ne_u32_e32 vcc_lo, 31, v1
	v_sub_nc_u32_e64 v12, s12, v3 clamp
	v_add_nc_u32_e32 v3, 1, v1
	v_add_co_ci_u32_e32 v2, vcc_lo, 0, v1, vcc_lo
	v_cmp_gt_u32_e32 vcc_lo, 30, v1
	s_delay_alu instid0(VALU_DEP_2)
	v_lshlrev_b32_e32 v2, 2, v2
	v_cndmask_b32_e64 v6, 0, 1, vcc_lo
	v_cmp_lt_u32_e32 vcc_lo, v3, v12
	ds_bpermute_b32 v5, v2, v4
	s_waitcnt lgkmcnt(0)
	v_dual_add_f32 v7, v4, v5 :: v_dual_lshlrev_b32 v6, 1, v6
	s_delay_alu instid0(VALU_DEP_1) | instskip(NEXT) | instid1(VALU_DEP_2)
	v_cndmask_b32_e32 v7, v4, v7, vcc_lo
	v_add_lshl_u32 v5, v6, v1, 2
	v_cmp_gt_u32_e32 vcc_lo, 28, v1
	ds_bpermute_b32 v6, v5, v7
	v_cndmask_b32_e64 v4, 0, 1, vcc_lo
	s_delay_alu instid0(VALU_DEP_1) | instskip(SKIP_1) | instid1(VALU_DEP_1)
	v_lshlrev_b32_e32 v8, 2, v4
	v_add_nc_u32_e32 v4, 2, v1
	v_cmp_lt_u32_e32 vcc_lo, v4, v12
	s_waitcnt lgkmcnt(0)
	v_add_f32_e32 v9, v7, v6
	v_add_lshl_u32 v6, v8, v1, 2
	s_delay_alu instid0(VALU_DEP_2) | instskip(SKIP_2) | instid1(VALU_DEP_1)
	v_cndmask_b32_e32 v9, v7, v9, vcc_lo
	v_cmp_gt_u32_e32 vcc_lo, 24, v1
	v_cndmask_b32_e64 v7, 0, 1, vcc_lo
	v_lshlrev_b32_e32 v10, 3, v7
	ds_bpermute_b32 v8, v6, v9
	v_add_nc_u32_e32 v7, 4, v1
	s_delay_alu instid0(VALU_DEP_1) | instskip(SKIP_3) | instid1(VALU_DEP_2)
	v_cmp_lt_u32_e32 vcc_lo, v7, v12
	s_waitcnt lgkmcnt(0)
	v_add_f32_e32 v11, v9, v8
	v_add_lshl_u32 v8, v10, v1, 2
	v_cndmask_b32_e32 v11, v9, v11, vcc_lo
	v_cmp_gt_u32_e32 vcc_lo, 16, v1
	ds_bpermute_b32 v10, v8, v11
	v_cndmask_b32_e64 v9, 0, 1, vcc_lo
	s_delay_alu instid0(VALU_DEP_1) | instskip(SKIP_1) | instid1(VALU_DEP_1)
	v_lshlrev_b32_e32 v13, 4, v9
	v_add_nc_u32_e32 v9, 8, v1
	v_cmp_lt_u32_e32 vcc_lo, v9, v12
	s_waitcnt lgkmcnt(0)
	v_add_f32_e32 v14, v11, v10
	v_add_lshl_u32 v10, v13, v1, 2
	s_delay_alu instid0(VALU_DEP_2)
	v_cndmask_b32_e32 v13, v11, v14, vcc_lo
	v_add_nc_u32_e32 v11, 16, v1
	ds_bpermute_b32 v14, v10, v13
	v_cmp_lt_u32_e32 vcc_lo, v11, v12
	s_waitcnt lgkmcnt(0)
	v_add_f32_e32 v14, v13, v14
	s_delay_alu instid0(VALU_DEP_1)
	v_cndmask_b32_e32 v12, v13, v14, vcc_lo
	v_cmpx_eq_u32_e32 0, v1
	s_cbranch_execz .LBB16_22
; %bb.21:
	v_lshrrev_b32_e32 v13, 3, v0
	s_delay_alu instid0(VALU_DEP_1)
	v_and_b32_e32 v13, 0x7c, v13
	ds_store_b32 v13, v12
.LBB16_22:
	s_or_b32 exec_lo, exec_lo, s2
	s_delay_alu instid0(SALU_CYCLE_1)
	s_mov_b32 s2, exec_lo
	s_waitcnt lgkmcnt(0)
	s_barrier
	buffer_gl0_inv
	v_cmpx_gt_u32_e32 32, v0
	s_cbranch_execz .LBB16_24
; %bb.23:
	v_lshlrev_b32_e32 v1, 2, v1
	s_add_i32 s3, s12, 31
	s_delay_alu instid0(SALU_CYCLE_1) | instskip(NEXT) | instid1(SALU_CYCLE_1)
	s_lshr_b32 s3, s3, 5
	v_cmp_gt_u32_e32 vcc_lo, s3, v3
	ds_load_b32 v1, v1
	s_waitcnt lgkmcnt(0)
	ds_bpermute_b32 v2, v2, v1
	s_waitcnt lgkmcnt(0)
	v_add_f32_e32 v2, v1, v2
	s_delay_alu instid0(VALU_DEP_1) | instskip(SKIP_4) | instid1(VALU_DEP_1)
	v_cndmask_b32_e32 v1, v1, v2, vcc_lo
	v_cmp_gt_u32_e32 vcc_lo, s3, v4
	ds_bpermute_b32 v2, v5, v1
	s_waitcnt lgkmcnt(0)
	v_add_f32_e32 v2, v1, v2
	v_cndmask_b32_e32 v1, v1, v2, vcc_lo
	v_cmp_gt_u32_e32 vcc_lo, s3, v7
	ds_bpermute_b32 v2, v6, v1
	s_waitcnt lgkmcnt(0)
	v_add_f32_e32 v2, v1, v2
	s_delay_alu instid0(VALU_DEP_1) | instskip(SKIP_4) | instid1(VALU_DEP_1)
	v_cndmask_b32_e32 v1, v1, v2, vcc_lo
	v_cmp_gt_u32_e32 vcc_lo, s3, v9
	ds_bpermute_b32 v2, v8, v1
	s_waitcnt lgkmcnt(0)
	v_add_f32_e32 v2, v1, v2
	v_cndmask_b32_e32 v1, v1, v2, vcc_lo
	v_cmp_gt_u32_e32 vcc_lo, s3, v11
	ds_bpermute_b32 v2, v10, v1
	s_waitcnt lgkmcnt(0)
	v_add_f32_e32 v2, v1, v2
	s_delay_alu instid0(VALU_DEP_1)
	v_cndmask_b32_e32 v12, v1, v2, vcc_lo
.LBB16_24:
	s_or_b32 exec_lo, exec_lo, s2
	s_delay_alu instid0(SALU_CYCLE_1)
	s_mov_b32 s2, exec_lo
	v_cmpx_eq_u32_e32 0, v0
	s_cbranch_execz .LBB16_26
; %bb.25:
	v_cvt_f32_i32_e32 v1, s13
	s_load_b32 s3, s[0:1], 0x28
	s_delay_alu instid0(VALU_DEP_1) | instskip(SKIP_1) | instid1(VALU_DEP_2)
	v_div_scale_f32 v2, null, v1, v1, v12
	v_div_scale_f32 v5, vcc_lo, v12, v1, v12
	v_rcp_f32_e32 v3, v2
	s_waitcnt_depctr 0xfff
	v_fma_f32 v4, -v2, v3, 1.0
	s_delay_alu instid0(VALU_DEP_1) | instskip(NEXT) | instid1(VALU_DEP_1)
	v_fmac_f32_e32 v3, v4, v3
	v_mul_f32_e32 v4, v5, v3
	s_delay_alu instid0(VALU_DEP_1) | instskip(NEXT) | instid1(VALU_DEP_1)
	v_fma_f32 v6, -v2, v4, v5
	v_fmac_f32_e32 v4, v6, v3
	s_delay_alu instid0(VALU_DEP_1) | instskip(NEXT) | instid1(VALU_DEP_1)
	v_fma_f32 v2, -v2, v4, v5
	v_div_fmas_f32 v2, v2, v3, v4
	s_delay_alu instid0(VALU_DEP_1) | instskip(SKIP_1) | instid1(VALU_DEP_1)
	v_div_fixup_f32 v1, v2, v1, v12
	s_waitcnt lgkmcnt(0)
	v_add_f32_e32 v1, s3, v1
	s_delay_alu instid0(VALU_DEP_1) | instskip(SKIP_1) | instid1(VALU_DEP_2)
	v_mul_f32_e32 v2, 0x4b800000, v1
	v_cmp_gt_f32_e32 vcc_lo, 0x800000, v1
	v_cndmask_b32_e32 v1, v1, v2, vcc_lo
	s_delay_alu instid0(VALU_DEP_1) | instskip(SKIP_2) | instid1(VALU_DEP_1)
	v_rsq_f32_e32 v1, v1
	s_waitcnt_depctr 0xfff
	v_mul_f32_e32 v2, 0x45800000, v1
	v_dual_cndmask_b32 v1, v1, v2 :: v_dual_mov_b32 v2, 0
	ds_store_b32 v2, v1 offset:128
.LBB16_26:
	s_or_b32 exec_lo, exec_lo, s2
	s_ashr_i32 s2, s13, 31
	s_waitcnt lgkmcnt(0)
	s_lshr_b32 s2, s2, 29
	s_barrier
	s_add_i32 s2, s13, s2
	buffer_gl0_inv
	s_ashr_i32 s8, s2, 3
	s_mov_b32 s2, exec_lo
	v_cmpx_gt_i32_e64 s8, v0
	s_cbranch_execz .LBB16_109
; %bb.27:
	s_clause 0x1
	s_load_b128 s[4:7], s[0:1], 0x18
	s_load_b64 s[2:3], s[0:1], 0x0
	s_mul_i32 s15, s15, s13
	s_lshl_b32 s9, s12, 4
	v_lshl_add_u32 v14, v0, 3, s15
	s_mov_b32 s13, 0x43600000
	v_mov_b32_e32 v10, 0
	v_lshlrev_b32_e32 v16, 4, v0
	ds_load_b32 v13, v10 offset:128
	s_waitcnt lgkmcnt(0)
	s_load_b32 s7, s[6:7], 0x0
	s_lshl_b32 s6, s12, 3
	s_waitcnt lgkmcnt(0)
	v_div_scale_f32 v1, null, s7, s7, 1.0
	v_div_scale_f32 v4, vcc_lo, 1.0, s7, 1.0
	s_delay_alu instid0(VALU_DEP_2) | instskip(SKIP_2) | instid1(VALU_DEP_1)
	v_rcp_f32_e32 v2, v1
	s_waitcnt_depctr 0xfff
	v_fma_f32 v3, -v1, v2, 1.0
	v_fmac_f32_e32 v2, v3, v2
	s_delay_alu instid0(VALU_DEP_1) | instskip(NEXT) | instid1(VALU_DEP_1)
	v_mul_f32_e32 v3, v4, v2
	v_fma_f32 v5, -v1, v3, v4
	s_delay_alu instid0(VALU_DEP_1) | instskip(NEXT) | instid1(VALU_DEP_1)
	v_fmac_f32_e32 v3, v5, v2
	v_fma_f32 v1, -v1, v3, v4
	s_delay_alu instid0(VALU_DEP_1) | instskip(NEXT) | instid1(VALU_DEP_1)
	v_div_fmas_f32 v1, v1, v2, v3
	v_div_fixup_f32 v15, v1, s7, 1.0
	s_mov_b32 s7, 0
	s_branch .LBB16_32
.LBB16_28:                              ;   in Loop: Header=BB16_32 Depth=1
	s_or_b32 exec_lo, exec_lo, s0
	s_delay_alu instid0(VALU_DEP_2) | instskip(NEXT) | instid1(VALU_DEP_2)
	v_lshrrev_b64 v[1:2], 20, v[1:2]
	v_cmp_gt_i32_e32 vcc_lo, 16, v4
	v_and_b32_e32 v3, 0x80, v3
	v_min_i32_e32 v5, 15, v4
	v_cmp_eq_u32_e64 s0, 0, v4
	v_dual_cndmask_b32 v2, 0, v2 :: v_dual_cndmask_b32 v1, 7, v1
	s_delay_alu instid0(VALU_DEP_3) | instskip(NEXT) | instid1(VALU_DEP_2)
	v_lshl_or_b32 v3, v5, 3, v3
	v_cmp_eq_u64_e32 vcc_lo, 0, v[1:2]
	s_delay_alu instid0(VALU_DEP_2)
	v_and_or_b32 v1, v1, 7, v3
	s_and_b32 s0, s0, vcc_lo
	s_delay_alu instid0(VALU_DEP_1) | instid1(SALU_CYCLE_1)
	v_cndmask_b32_e64 v1, v1, 0, s0
.LBB16_29:                              ;   in Loop: Header=BB16_32 Depth=1
	s_or_b32 exec_lo, exec_lo, s16
.LBB16_30:                              ;   in Loop: Header=BB16_32 Depth=1
	s_and_not1_saveexec_b32 s0, s15
	s_delay_alu instid0(SALU_CYCLE_1)
	s_or_b32 exec_lo, exec_lo, s0
.LBB16_31:                              ;   in Loop: Header=BB16_32 Depth=1
	s_and_not1_saveexec_b32 s0, s14
	s_delay_alu instid0(SALU_CYCLE_1)
	s_or_b32 exec_lo, exec_lo, s0
	v_add_nc_u32_e32 v0, s12, v0
	s_add_u32 s4, s4, s9
	v_add_nc_u32_e32 v2, 7, v14
	v_add_nc_u32_e32 v14, s6, v14
	s_addc_u32 s5, s5, 0
	v_cmp_le_i32_e32 vcc_lo, s8, v0
	s_add_u32 s10, s10, s9
	s_addc_u32 s11, s11, 0
	global_store_b8 v2, v1, s[2:3]
	s_or_b32 s7, vcc_lo, s7
	s_delay_alu instid0(SALU_CYCLE_1)
	s_and_not1_b32 exec_lo, exec_lo, s7
	s_cbranch_execz .LBB16_109
.LBB16_32:                              ; =>This Inner Loop Header: Depth=1
	v_add_co_u32 v1, s0, s10, v16
	s_delay_alu instid0(VALU_DEP_1) | instskip(SKIP_1) | instid1(VALU_DEP_1)
	v_add_co_ci_u32_e64 v2, null, s11, 0, s0
	v_add_co_u32 v5, s0, s4, v16
	v_add_co_ci_u32_e64 v6, null, s5, 0, s0
	global_load_b128 v[1:4], v[1:2], off
	s_mov_b32 s0, exec_lo
	global_load_b128 v[5:8], v[5:6], off
	s_waitcnt vmcnt(1)
	v_fma_mixlo_f16 v9, v13, v1, 0 op_sel_hi:[0,1,0]
	s_waitcnt vmcnt(0)
	s_delay_alu instid0(VALU_DEP_1) | instskip(NEXT) | instid1(VALU_DEP_1)
	v_mul_f16_e32 v9, v5, v9
	v_cvt_f32_f16_e32 v9, v9
	s_delay_alu instid0(VALU_DEP_1) | instskip(NEXT) | instid1(VALU_DEP_1)
	v_mul_f32_e32 v9, v15, v9
	v_minmax_f32 v12, v9, s13, 0xc3600000
	s_delay_alu instid0(VALU_DEP_1) | instskip(SKIP_1) | instid1(VALU_DEP_2)
	v_lshrrev_b32_e32 v17, 24, v12
	v_and_b32_e32 v9, 0x7f800000, v12
	v_or_b32_e32 v11, 0x7f, v17
	s_delay_alu instid0(VALU_DEP_2)
	v_cmpx_ne_u64_e32 0x7f800000, v[9:10]
	s_xor_b32 s14, exec_lo, s0
	s_cbranch_execz .LBB16_42
; %bb.33:                               ;   in Loop: Header=BB16_32 Depth=1
	v_and_b32_e32 v9, 0x7fffffff, v12
	s_mov_b32 s0, exec_lo
	s_delay_alu instid0(VALU_DEP_1)
	v_cmpx_gt_u64_e32 0x43700001, v[9:10]
	s_xor_b32 s15, exec_lo, s0
	s_cbranch_execz .LBB16_41
; %bb.34:                               ;   in Loop: Header=BB16_32 Depth=1
	v_mov_b32_e32 v11, 0
	s_mov_b32 s16, exec_lo
	v_cmpx_ne_u32_e32 0, v12
	s_cbranch_execz .LBB16_40
; %bb.35:                               ;   in Loop: Header=BB16_32 Depth=1
	v_bfe_u32 v22, v12, 23, 8
	v_and_b32_e32 v11, 0x7fffff, v12
	s_delay_alu instid0(VALU_DEP_2) | instskip(SKIP_2) | instid1(VALU_DEP_3)
	v_sub_nc_u32_e64 v9, 0x78, v22 clamp
	v_cmp_eq_u32_e32 vcc_lo, 0, v22
	v_add_nc_u32_e32 v22, 0xffffff89, v22
	v_cndmask_b32_e64 v23, v9, 0x77, vcc_lo
	v_or_b32_e32 v9, 0x800000, v11
	s_delay_alu instid0(VALU_DEP_2) | instskip(NEXT) | instid1(VALU_DEP_2)
	v_add_nc_u32_e32 v12, 20, v23
	v_cndmask_b32_e32 v9, v9, v11, vcc_lo
	v_add_nc_u32_e32 v18, 19, v23
	s_delay_alu instid0(VALU_DEP_3) | instskip(NEXT) | instid1(VALU_DEP_3)
	v_lshlrev_b64 v[11:12], v12, -1
	v_lshrrev_b64 v[20:21], v23, v[9:10]
	s_delay_alu instid0(VALU_DEP_3) | instskip(SKIP_1) | instid1(VALU_DEP_4)
	v_lshlrev_b64 v[18:19], v18, 1
	v_mov_b32_e32 v12, v10
	v_not_b32_e32 v11, v11
	s_delay_alu instid0(VALU_DEP_1) | instskip(SKIP_1) | instid1(VALU_DEP_2)
	v_and_b32_e32 v11, v9, v11
	v_and_b32_e32 v9, 0x100000, v20
	v_cmp_eq_u64_e64 s0, v[11:12], v[18:19]
	s_delay_alu instid0(VALU_DEP_2) | instskip(SKIP_2) | instid1(VALU_DEP_3)
	v_cmp_eq_u64_e64 s1, 0, v[9:10]
	v_cndmask_b32_e64 v9, v22, 0xffffff8a, vcc_lo
	v_lshrrev_b32_e32 v11, 23, v20
	s_and_b32 vcc_lo, s1, s0
	s_delay_alu instid0(VALU_DEP_1) | instskip(SKIP_2) | instid1(VALU_DEP_2)
	v_add3_u32 v18, v9, v23, v11
	v_subrev_co_ci_u32_e32 v12, vcc_lo, 0, v20, vcc_lo
	s_mov_b32 s0, exec_lo
	v_add_nc_u32_e32 v19, -1, v18
	s_delay_alu instid0(VALU_DEP_2) | instskip(NEXT) | instid1(VALU_DEP_1)
	v_and_b32_e32 v9, 0xfffff, v12
	v_add_co_u32 v11, vcc_lo, v9, v20
	v_add_co_ci_u32_e32 v12, vcc_lo, 0, v21, vcc_lo
                                        ; implicit-def: $vgpr9
	s_delay_alu instid0(VALU_DEP_4)
	v_cmpx_ne_u32_e32 0, v19
	s_xor_b32 s0, exec_lo, s0
; %bb.36:                               ;   in Loop: Header=BB16_32 Depth=1
	s_delay_alu instid0(VALU_DEP_3) | instskip(SKIP_1) | instid1(VALU_DEP_2)
	v_and_b32_e32 v9, 0x1000000, v11
	v_bfe_u32 v20, v11, 24, 1
	v_cmp_eq_u64_e32 vcc_lo, 0, v[9:10]
	s_delay_alu instid0(VALU_DEP_2)
	v_lshrrev_b64 v[11:12], v20, v[11:12]
	v_cndmask_b32_e32 v9, v18, v19, vcc_lo
; %bb.37:                               ;   in Loop: Header=BB16_32 Depth=1
	s_and_not1_saveexec_b32 s0, s0
; %bb.38:                               ;   in Loop: Header=BB16_32 Depth=1
	s_delay_alu instid0(VALU_DEP_2)
	v_bfe_u32 v9, v11, 23, 1
; %bb.39:                               ;   in Loop: Header=BB16_32 Depth=1
	s_or_b32 exec_lo, exec_lo, s0
	s_delay_alu instid0(VALU_DEP_3) | instskip(NEXT) | instid1(VALU_DEP_2)
	v_lshrrev_b64 v[11:12], 20, v[11:12]
	v_cmp_gt_i32_e32 vcc_lo, 16, v9
	v_and_b32_e32 v17, 0x80, v17
	v_min_i32_e32 v18, 15, v9
	v_cmp_eq_u32_e64 s0, 0, v9
	v_dual_cndmask_b32 v12, 0, v12 :: v_dual_cndmask_b32 v11, 7, v11
	s_delay_alu instid0(VALU_DEP_3) | instskip(NEXT) | instid1(VALU_DEP_2)
	v_lshl_or_b32 v17, v18, 3, v17
	v_cmp_eq_u64_e32 vcc_lo, 0, v[11:12]
	s_delay_alu instid0(VALU_DEP_2)
	v_and_or_b32 v9, v11, 7, v17
	s_and_b32 s0, s0, vcc_lo
	s_delay_alu instid0(VALU_DEP_1) | instid1(SALU_CYCLE_1)
	v_cndmask_b32_e64 v11, v9, 0, s0
.LBB16_40:                              ;   in Loop: Header=BB16_32 Depth=1
	s_or_b32 exec_lo, exec_lo, s16
.LBB16_41:                              ;   in Loop: Header=BB16_32 Depth=1
	s_and_not1_saveexec_b32 s0, s15
	s_delay_alu instid0(SALU_CYCLE_1)
	s_or_b32 exec_lo, exec_lo, s0
.LBB16_42:                              ;   in Loop: Header=BB16_32 Depth=1
	s_and_not1_saveexec_b32 s0, s14
	s_delay_alu instid0(SALU_CYCLE_1)
	s_or_b32 exec_lo, exec_lo, s0
	v_lshrrev_b32_e32 v5, 16, v5
	v_fma_mixlo_f16 v1, v13, v1, 0 op_sel:[0,1,0] op_sel_hi:[0,1,0]
	global_store_b8 v14, v11, s[2:3]
	s_mov_b32 s0, exec_lo
	v_mul_f16_e32 v1, v5, v1
	s_delay_alu instid0(VALU_DEP_1) | instskip(NEXT) | instid1(VALU_DEP_1)
	v_cvt_f32_f16_e32 v1, v1
	v_mul_f32_e32 v1, v15, v1
	s_delay_alu instid0(VALU_DEP_1) | instskip(NEXT) | instid1(VALU_DEP_1)
	v_minmax_f32 v12, v1, s13, 0xc3600000
	v_lshrrev_b32_e32 v1, 24, v12
	v_and_b32_e32 v9, 0x7f800000, v12
	s_delay_alu instid0(VALU_DEP_2) | instskip(NEXT) | instid1(VALU_DEP_2)
	v_or_b32_e32 v5, 0x7f, v1
	v_cmpx_ne_u64_e32 0x7f800000, v[9:10]
	s_xor_b32 s14, exec_lo, s0
	s_cbranch_execz .LBB16_52
; %bb.43:                               ;   in Loop: Header=BB16_32 Depth=1
	v_and_b32_e32 v9, 0x7fffffff, v12
	s_mov_b32 s0, exec_lo
	s_delay_alu instid0(VALU_DEP_1)
	v_cmpx_gt_u64_e32 0x43700001, v[9:10]
	s_xor_b32 s15, exec_lo, s0
	s_cbranch_execz .LBB16_51
; %bb.44:                               ;   in Loop: Header=BB16_32 Depth=1
	v_mov_b32_e32 v5, 0
	s_mov_b32 s16, exec_lo
	v_cmpx_ne_u32_e32 0, v12
	s_cbranch_execz .LBB16_50
; %bb.45:                               ;   in Loop: Header=BB16_32 Depth=1
	v_bfe_u32 v5, v12, 23, 8
	v_and_b32_e32 v11, 0x7fffff, v12
	s_delay_alu instid0(VALU_DEP_2) | instskip(SKIP_2) | instid1(VALU_DEP_3)
	v_sub_nc_u32_e64 v9, 0x78, v5 clamp
	v_cmp_eq_u32_e32 vcc_lo, 0, v5
	v_add_nc_u32_e32 v5, 0xffffff89, v5
	v_cndmask_b32_e64 v21, v9, 0x77, vcc_lo
	v_or_b32_e32 v9, 0x800000, v11
	s_delay_alu instid0(VALU_DEP_3) | instskip(NEXT) | instid1(VALU_DEP_2)
	v_cndmask_b32_e64 v5, v5, 0xffffff8a, vcc_lo
	v_dual_cndmask_b32 v9, v9, v11 :: v_dual_add_nc_u32 v12, 20, v21
	v_add_nc_u32_e32 v17, 19, v21
	s_delay_alu instid0(VALU_DEP_2) | instskip(NEXT) | instid1(VALU_DEP_3)
	v_lshlrev_b64 v[11:12], v12, -1
	v_lshrrev_b64 v[19:20], v21, v[9:10]
	s_delay_alu instid0(VALU_DEP_3) | instskip(SKIP_1) | instid1(VALU_DEP_4)
	v_lshlrev_b64 v[17:18], v17, 1
	v_mov_b32_e32 v12, v10
	v_not_b32_e32 v11, v11
	s_delay_alu instid0(VALU_DEP_1) | instskip(SKIP_1) | instid1(VALU_DEP_2)
	v_and_b32_e32 v11, v9, v11
	v_and_b32_e32 v9, 0x100000, v19
	v_cmp_eq_u64_e64 s0, v[11:12], v[17:18]
	s_delay_alu instid0(VALU_DEP_2) | instskip(SKIP_1) | instid1(VALU_DEP_1)
	v_cmp_eq_u64_e64 s1, 0, v[9:10]
	v_lshrrev_b32_e32 v9, 23, v19
	v_add3_u32 v17, v5, v21, v9
	s_delay_alu instid0(VALU_DEP_3) | instskip(SKIP_2) | instid1(VALU_DEP_2)
	s_and_b32 vcc_lo, s1, s0
	s_mov_b32 s0, exec_lo
	v_subrev_co_ci_u32_e32 v11, vcc_lo, 0, v19, vcc_lo
	v_add_nc_u32_e32 v18, -1, v17
	s_delay_alu instid0(VALU_DEP_2) | instskip(NEXT) | instid1(VALU_DEP_1)
	v_and_b32_e32 v5, 0xfffff, v11
	v_add_co_u32 v11, vcc_lo, v5, v19
	v_add_co_ci_u32_e32 v12, vcc_lo, 0, v20, vcc_lo
                                        ; implicit-def: $vgpr5
	s_delay_alu instid0(VALU_DEP_4)
	v_cmpx_ne_u32_e32 0, v18
	s_xor_b32 s0, exec_lo, s0
; %bb.46:                               ;   in Loop: Header=BB16_32 Depth=1
	s_delay_alu instid0(VALU_DEP_3) | instskip(SKIP_1) | instid1(VALU_DEP_2)
	v_and_b32_e32 v9, 0x1000000, v11
	v_bfe_u32 v5, v11, 24, 1
	v_cmp_eq_u64_e32 vcc_lo, 0, v[9:10]
	s_delay_alu instid0(VALU_DEP_2)
	v_lshrrev_b64 v[11:12], v5, v[11:12]
	v_cndmask_b32_e32 v5, v17, v18, vcc_lo
; %bb.47:                               ;   in Loop: Header=BB16_32 Depth=1
	s_and_not1_saveexec_b32 s0, s0
; %bb.48:                               ;   in Loop: Header=BB16_32 Depth=1
	s_delay_alu instid0(VALU_DEP_2)
	v_bfe_u32 v5, v11, 23, 1
; %bb.49:                               ;   in Loop: Header=BB16_32 Depth=1
	s_or_b32 exec_lo, exec_lo, s0
	s_delay_alu instid0(VALU_DEP_3) | instskip(NEXT) | instid1(VALU_DEP_2)
	v_lshrrev_b64 v[11:12], 20, v[11:12]
	v_cmp_gt_i32_e32 vcc_lo, 16, v5
	v_and_b32_e32 v1, 0x80, v1
	v_min_i32_e32 v9, 15, v5
	v_cmp_eq_u32_e64 s0, 0, v5
	v_dual_cndmask_b32 v12, 0, v12 :: v_dual_cndmask_b32 v11, 7, v11
	s_delay_alu instid0(VALU_DEP_3) | instskip(NEXT) | instid1(VALU_DEP_2)
	v_lshl_or_b32 v1, v9, 3, v1
	v_cmp_eq_u64_e32 vcc_lo, 0, v[11:12]
	s_delay_alu instid0(VALU_DEP_2)
	v_and_or_b32 v1, v11, 7, v1
	s_and_b32 s0, s0, vcc_lo
	s_delay_alu instid0(VALU_DEP_1) | instid1(SALU_CYCLE_1)
	v_cndmask_b32_e64 v5, v1, 0, s0
.LBB16_50:                              ;   in Loop: Header=BB16_32 Depth=1
	s_or_b32 exec_lo, exec_lo, s16
.LBB16_51:                              ;   in Loop: Header=BB16_32 Depth=1
	s_and_not1_saveexec_b32 s0, s15
	s_delay_alu instid0(SALU_CYCLE_1)
	s_or_b32 exec_lo, exec_lo, s0
.LBB16_52:                              ;   in Loop: Header=BB16_32 Depth=1
	s_and_not1_saveexec_b32 s0, s14
	s_delay_alu instid0(SALU_CYCLE_1) | instskip(SKIP_3) | instid1(VALU_DEP_2)
	s_or_b32 exec_lo, exec_lo, s0
	v_fma_mixlo_f16 v1, v13, v2, 0 op_sel_hi:[0,1,0]
	v_add_nc_u32_e32 v17, 1, v14
	s_mov_b32 s0, exec_lo
	v_mul_f16_e32 v1, v6, v1
	global_store_b8 v17, v5, s[2:3]
	v_cvt_f32_f16_e32 v1, v1
	s_delay_alu instid0(VALU_DEP_1) | instskip(NEXT) | instid1(VALU_DEP_1)
	v_mul_f32_e32 v1, v15, v1
	v_minmax_f32 v12, v1, s13, 0xc3600000
	s_delay_alu instid0(VALU_DEP_1) | instskip(SKIP_1) | instid1(VALU_DEP_2)
	v_lshrrev_b32_e32 v1, 24, v12
	v_and_b32_e32 v9, 0x7f800000, v12
	v_or_b32_e32 v11, 0x7f, v1
	s_delay_alu instid0(VALU_DEP_2)
	v_cmpx_ne_u64_e32 0x7f800000, v[9:10]
	s_xor_b32 s14, exec_lo, s0
	s_cbranch_execz .LBB16_62
; %bb.53:                               ;   in Loop: Header=BB16_32 Depth=1
	v_and_b32_e32 v9, 0x7fffffff, v12
	s_mov_b32 s0, exec_lo
	s_delay_alu instid0(VALU_DEP_1)
	v_cmpx_gt_u64_e32 0x43700001, v[9:10]
	s_xor_b32 s15, exec_lo, s0
	s_cbranch_execz .LBB16_61
; %bb.54:                               ;   in Loop: Header=BB16_32 Depth=1
	v_mov_b32_e32 v11, 0
	s_mov_b32 s16, exec_lo
	v_cmpx_ne_u32_e32 0, v12
	s_cbranch_execz .LBB16_60
; %bb.55:                               ;   in Loop: Header=BB16_32 Depth=1
	v_bfe_u32 v5, v12, 23, 8
	v_and_b32_e32 v11, 0x7fffff, v12
	s_delay_alu instid0(VALU_DEP_2) | instskip(SKIP_2) | instid1(VALU_DEP_3)
	v_sub_nc_u32_e64 v9, 0x78, v5 clamp
	v_cmp_eq_u32_e32 vcc_lo, 0, v5
	v_add_nc_u32_e32 v5, 0xffffff89, v5
	v_cndmask_b32_e64 v21, v9, 0x77, vcc_lo
	v_or_b32_e32 v9, 0x800000, v11
	s_delay_alu instid0(VALU_DEP_3) | instskip(NEXT) | instid1(VALU_DEP_2)
	v_cndmask_b32_e64 v5, v5, 0xffffff8a, vcc_lo
	v_dual_cndmask_b32 v9, v9, v11 :: v_dual_add_nc_u32 v12, 20, v21
	v_add_nc_u32_e32 v17, 19, v21
	s_delay_alu instid0(VALU_DEP_2) | instskip(NEXT) | instid1(VALU_DEP_3)
	v_lshlrev_b64 v[11:12], v12, -1
	v_lshrrev_b64 v[19:20], v21, v[9:10]
	s_delay_alu instid0(VALU_DEP_3) | instskip(SKIP_1) | instid1(VALU_DEP_4)
	v_lshlrev_b64 v[17:18], v17, 1
	v_mov_b32_e32 v12, v10
	v_not_b32_e32 v11, v11
	s_delay_alu instid0(VALU_DEP_1) | instskip(SKIP_1) | instid1(VALU_DEP_2)
	v_and_b32_e32 v11, v9, v11
	v_and_b32_e32 v9, 0x100000, v19
	v_cmp_eq_u64_e64 s0, v[11:12], v[17:18]
	s_delay_alu instid0(VALU_DEP_2) | instskip(SKIP_1) | instid1(VALU_DEP_1)
	v_cmp_eq_u64_e64 s1, 0, v[9:10]
	v_lshrrev_b32_e32 v9, 23, v19
	v_add3_u32 v17, v5, v21, v9
	s_delay_alu instid0(VALU_DEP_3) | instskip(SKIP_2) | instid1(VALU_DEP_2)
	s_and_b32 vcc_lo, s1, s0
	s_mov_b32 s0, exec_lo
	v_subrev_co_ci_u32_e32 v11, vcc_lo, 0, v19, vcc_lo
	v_add_nc_u32_e32 v18, -1, v17
	s_delay_alu instid0(VALU_DEP_2) | instskip(NEXT) | instid1(VALU_DEP_1)
	v_and_b32_e32 v5, 0xfffff, v11
	v_add_co_u32 v11, vcc_lo, v5, v19
	v_add_co_ci_u32_e32 v12, vcc_lo, 0, v20, vcc_lo
                                        ; implicit-def: $vgpr5
	s_delay_alu instid0(VALU_DEP_4)
	v_cmpx_ne_u32_e32 0, v18
	s_xor_b32 s0, exec_lo, s0
; %bb.56:                               ;   in Loop: Header=BB16_32 Depth=1
	s_delay_alu instid0(VALU_DEP_3) | instskip(SKIP_1) | instid1(VALU_DEP_2)
	v_and_b32_e32 v9, 0x1000000, v11
	v_bfe_u32 v5, v11, 24, 1
	v_cmp_eq_u64_e32 vcc_lo, 0, v[9:10]
	s_delay_alu instid0(VALU_DEP_2)
	v_lshrrev_b64 v[11:12], v5, v[11:12]
	v_cndmask_b32_e32 v5, v17, v18, vcc_lo
; %bb.57:                               ;   in Loop: Header=BB16_32 Depth=1
	s_and_not1_saveexec_b32 s0, s0
; %bb.58:                               ;   in Loop: Header=BB16_32 Depth=1
	s_delay_alu instid0(VALU_DEP_2)
	v_bfe_u32 v5, v11, 23, 1
; %bb.59:                               ;   in Loop: Header=BB16_32 Depth=1
	s_or_b32 exec_lo, exec_lo, s0
	s_delay_alu instid0(VALU_DEP_3) | instskip(NEXT) | instid1(VALU_DEP_2)
	v_lshrrev_b64 v[11:12], 20, v[11:12]
	v_cmp_gt_i32_e32 vcc_lo, 16, v5
	v_and_b32_e32 v1, 0x80, v1
	v_min_i32_e32 v9, 15, v5
	v_cmp_eq_u32_e64 s0, 0, v5
	v_dual_cndmask_b32 v12, 0, v12 :: v_dual_cndmask_b32 v11, 7, v11
	s_delay_alu instid0(VALU_DEP_3) | instskip(NEXT) | instid1(VALU_DEP_2)
	v_lshl_or_b32 v1, v9, 3, v1
	v_cmp_eq_u64_e32 vcc_lo, 0, v[11:12]
	s_delay_alu instid0(VALU_DEP_2)
	v_and_or_b32 v1, v11, 7, v1
	s_and_b32 s0, s0, vcc_lo
	s_delay_alu instid0(VALU_DEP_1) | instid1(SALU_CYCLE_1)
	v_cndmask_b32_e64 v11, v1, 0, s0
.LBB16_60:                              ;   in Loop: Header=BB16_32 Depth=1
	s_or_b32 exec_lo, exec_lo, s16
.LBB16_61:                              ;   in Loop: Header=BB16_32 Depth=1
	s_and_not1_saveexec_b32 s0, s15
	s_delay_alu instid0(SALU_CYCLE_1)
	s_or_b32 exec_lo, exec_lo, s0
.LBB16_62:                              ;   in Loop: Header=BB16_32 Depth=1
	s_and_not1_saveexec_b32 s0, s14
	s_delay_alu instid0(SALU_CYCLE_1) | instskip(SKIP_4) | instid1(VALU_DEP_2)
	s_or_b32 exec_lo, exec_lo, s0
	v_lshrrev_b32_e32 v1, 16, v6
	v_fma_mixlo_f16 v2, v13, v2, 0 op_sel:[0,1,0] op_sel_hi:[0,1,0]
	s_mov_b32 s0, exec_lo
	v_add_nc_u32_e32 v6, 2, v14
	v_mul_f16_e32 v1, v1, v2
	global_store_b8 v6, v11, s[2:3]
	v_cvt_f32_f16_e32 v1, v1
	s_delay_alu instid0(VALU_DEP_1) | instskip(NEXT) | instid1(VALU_DEP_1)
	v_mul_f32_e32 v1, v15, v1
	v_minmax_f32 v1, v1, s13, 0xc3600000
	s_delay_alu instid0(VALU_DEP_1) | instskip(SKIP_1) | instid1(VALU_DEP_2)
	v_lshrrev_b32_e32 v5, 24, v1
	v_and_b32_e32 v9, 0x7f800000, v1
	v_or_b32_e32 v2, 0x7f, v5
	s_delay_alu instid0(VALU_DEP_2)
	v_cmpx_ne_u64_e32 0x7f800000, v[9:10]
	s_xor_b32 s14, exec_lo, s0
	s_cbranch_execz .LBB16_72
; %bb.63:                               ;   in Loop: Header=BB16_32 Depth=1
	v_and_b32_e32 v9, 0x7fffffff, v1
	s_mov_b32 s0, exec_lo
	s_delay_alu instid0(VALU_DEP_1)
	v_cmpx_gt_u64_e32 0x43700001, v[9:10]
	s_xor_b32 s15, exec_lo, s0
	s_cbranch_execz .LBB16_71
; %bb.64:                               ;   in Loop: Header=BB16_32 Depth=1
	v_mov_b32_e32 v2, 0
	s_mov_b32 s16, exec_lo
	v_cmpx_ne_u32_e32 0, v1
	s_cbranch_execz .LBB16_70
; %bb.65:                               ;   in Loop: Header=BB16_32 Depth=1
	v_bfe_u32 v6, v1, 23, 8
	v_and_b32_e32 v1, 0x7fffff, v1
	s_delay_alu instid0(VALU_DEP_2) | instskip(SKIP_2) | instid1(VALU_DEP_3)
	v_sub_nc_u32_e64 v2, 0x78, v6 clamp
	v_cmp_eq_u32_e32 vcc_lo, 0, v6
	v_add_nc_u32_e32 v6, 0xffffff89, v6
	v_cndmask_b32_e64 v19, v2, 0x77, vcc_lo
	v_or_b32_e32 v2, 0x800000, v1
	s_delay_alu instid0(VALU_DEP_2) | instskip(NEXT) | instid1(VALU_DEP_2)
	v_add_nc_u32_e32 v11, 20, v19
	v_cndmask_b32_e32 v9, v2, v1, vcc_lo
	s_delay_alu instid0(VALU_DEP_2) | instskip(SKIP_1) | instid1(VALU_DEP_3)
	v_lshlrev_b64 v[1:2], v11, -1
	v_add_nc_u32_e32 v11, 19, v19
	v_lshrrev_b64 v[17:18], v19, v[9:10]
	v_mov_b32_e32 v2, v10
	s_delay_alu instid0(VALU_DEP_3) | instskip(SKIP_1) | instid1(VALU_DEP_1)
	v_lshlrev_b64 v[11:12], v11, 1
	v_not_b32_e32 v1, v1
	v_and_b32_e32 v1, v9, v1
	v_and_b32_e32 v9, 0x100000, v17
	s_delay_alu instid0(VALU_DEP_2) | instskip(NEXT) | instid1(VALU_DEP_2)
	v_cmp_eq_u64_e64 s0, v[1:2], v[11:12]
	v_cmp_eq_u64_e64 s1, 0, v[9:10]
	v_cndmask_b32_e64 v1, v6, 0xffffff8a, vcc_lo
	v_lshrrev_b32_e32 v2, 23, v17
	s_delay_alu instid0(VALU_DEP_3) | instskip(NEXT) | instid1(VALU_DEP_1)
	s_and_b32 vcc_lo, s1, s0
	v_add3_u32 v11, v1, v19, v2
	v_subrev_co_ci_u32_e32 v6, vcc_lo, 0, v17, vcc_lo
	s_mov_b32 s0, exec_lo
	s_delay_alu instid0(VALU_DEP_2) | instskip(NEXT) | instid1(VALU_DEP_2)
	v_add_nc_u32_e32 v12, -1, v11
	v_and_b32_e32 v1, 0xfffff, v6
                                        ; implicit-def: $vgpr6
	s_delay_alu instid0(VALU_DEP_1) | instskip(SKIP_1) | instid1(VALU_DEP_4)
	v_add_co_u32 v1, vcc_lo, v1, v17
	v_add_co_ci_u32_e32 v2, vcc_lo, 0, v18, vcc_lo
	v_cmpx_ne_u32_e32 0, v12
	s_xor_b32 s0, exec_lo, s0
; %bb.66:                               ;   in Loop: Header=BB16_32 Depth=1
	s_delay_alu instid0(VALU_DEP_3) | instskip(SKIP_1) | instid1(VALU_DEP_2)
	v_and_b32_e32 v9, 0x1000000, v1
	v_bfe_u32 v6, v1, 24, 1
	v_cmp_eq_u64_e32 vcc_lo, 0, v[9:10]
	s_delay_alu instid0(VALU_DEP_2)
	v_lshrrev_b64 v[1:2], v6, v[1:2]
	v_cndmask_b32_e32 v6, v11, v12, vcc_lo
; %bb.67:                               ;   in Loop: Header=BB16_32 Depth=1
	s_and_not1_saveexec_b32 s0, s0
; %bb.68:                               ;   in Loop: Header=BB16_32 Depth=1
	s_delay_alu instid0(VALU_DEP_2)
	v_bfe_u32 v6, v1, 23, 1
; %bb.69:                               ;   in Loop: Header=BB16_32 Depth=1
	s_or_b32 exec_lo, exec_lo, s0
	s_delay_alu instid0(VALU_DEP_3) | instskip(NEXT) | instid1(VALU_DEP_2)
	v_lshrrev_b64 v[1:2], 20, v[1:2]
	v_cmp_gt_i32_e32 vcc_lo, 16, v6
	v_and_b32_e32 v5, 0x80, v5
	v_min_i32_e32 v9, 15, v6
	v_cmp_eq_u32_e64 s0, 0, v6
	v_dual_cndmask_b32 v2, 0, v2 :: v_dual_cndmask_b32 v1, 7, v1
	s_delay_alu instid0(VALU_DEP_3) | instskip(NEXT) | instid1(VALU_DEP_2)
	v_lshl_or_b32 v5, v9, 3, v5
	v_cmp_eq_u64_e32 vcc_lo, 0, v[1:2]
	s_delay_alu instid0(VALU_DEP_2)
	v_and_or_b32 v1, v1, 7, v5
	s_and_b32 s0, s0, vcc_lo
	s_delay_alu instid0(VALU_DEP_1) | instid1(SALU_CYCLE_1)
	v_cndmask_b32_e64 v2, v1, 0, s0
.LBB16_70:                              ;   in Loop: Header=BB16_32 Depth=1
	s_or_b32 exec_lo, exec_lo, s16
.LBB16_71:                              ;   in Loop: Header=BB16_32 Depth=1
	s_and_not1_saveexec_b32 s0, s15
	s_delay_alu instid0(SALU_CYCLE_1)
	s_or_b32 exec_lo, exec_lo, s0
.LBB16_72:                              ;   in Loop: Header=BB16_32 Depth=1
	s_and_not1_saveexec_b32 s0, s14
	s_delay_alu instid0(SALU_CYCLE_1) | instskip(SKIP_3) | instid1(VALU_DEP_2)
	s_or_b32 exec_lo, exec_lo, s0
	v_fma_mixlo_f16 v1, v13, v3, 0 op_sel_hi:[0,1,0]
	v_add_nc_u32_e32 v11, 3, v14
	s_mov_b32 s0, exec_lo
	v_mul_f16_e32 v1, v7, v1
	global_store_b8 v11, v2, s[2:3]
	v_cvt_f32_f16_e32 v1, v1
	s_delay_alu instid0(VALU_DEP_1) | instskip(NEXT) | instid1(VALU_DEP_1)
	v_mul_f32_e32 v1, v15, v1
	v_minmax_f32 v6, v1, s13, 0xc3600000
	s_delay_alu instid0(VALU_DEP_1) | instskip(SKIP_1) | instid1(VALU_DEP_2)
	v_lshrrev_b32_e32 v5, 24, v6
	v_and_b32_e32 v9, 0x7f800000, v6
	v_or_b32_e32 v1, 0x7f, v5
	s_delay_alu instid0(VALU_DEP_2)
	v_cmpx_ne_u64_e32 0x7f800000, v[9:10]
	s_xor_b32 s14, exec_lo, s0
	s_cbranch_execz .LBB16_82
; %bb.73:                               ;   in Loop: Header=BB16_32 Depth=1
	v_and_b32_e32 v9, 0x7fffffff, v6
	s_mov_b32 s0, exec_lo
	s_delay_alu instid0(VALU_DEP_1)
	v_cmpx_gt_u64_e32 0x43700001, v[9:10]
	s_xor_b32 s15, exec_lo, s0
	s_cbranch_execz .LBB16_81
; %bb.74:                               ;   in Loop: Header=BB16_32 Depth=1
	v_mov_b32_e32 v1, 0
	s_mov_b32 s16, exec_lo
	v_cmpx_ne_u32_e32 0, v6
	s_cbranch_execz .LBB16_80
; %bb.75:                               ;   in Loop: Header=BB16_32 Depth=1
	v_bfe_u32 v19, v6, 23, 8
	v_and_b32_e32 v2, 0x7fffff, v6
	s_delay_alu instid0(VALU_DEP_2) | instskip(SKIP_2) | instid1(VALU_DEP_3)
	v_sub_nc_u32_e64 v1, 0x78, v19 clamp
	v_cmp_eq_u32_e32 vcc_lo, 0, v19
	v_add_nc_u32_e32 v19, 0xffffff89, v19
	v_cndmask_b32_e64 v6, v1, 0x77, vcc_lo
	v_or_b32_e32 v1, 0x800000, v2
	s_delay_alu instid0(VALU_DEP_2) | instskip(NEXT) | instid1(VALU_DEP_2)
	v_add_nc_u32_e32 v11, 20, v6
	v_cndmask_b32_e32 v9, v1, v2, vcc_lo
	s_delay_alu instid0(VALU_DEP_2) | instskip(SKIP_1) | instid1(VALU_DEP_3)
	v_lshlrev_b64 v[1:2], v11, -1
	v_add_nc_u32_e32 v11, 19, v6
	v_lshrrev_b64 v[17:18], v6, v[9:10]
	v_mov_b32_e32 v2, v10
	s_delay_alu instid0(VALU_DEP_3) | instskip(SKIP_1) | instid1(VALU_DEP_1)
	v_lshlrev_b64 v[11:12], v11, 1
	v_not_b32_e32 v1, v1
	v_and_b32_e32 v1, v9, v1
	v_and_b32_e32 v9, 0x100000, v17
	s_delay_alu instid0(VALU_DEP_2) | instskip(NEXT) | instid1(VALU_DEP_2)
	v_cmp_eq_u64_e64 s0, v[1:2], v[11:12]
	v_cmp_eq_u64_e64 s1, 0, v[9:10]
	v_cndmask_b32_e64 v1, v19, 0xffffff8a, vcc_lo
	v_lshrrev_b32_e32 v2, 23, v17
	s_delay_alu instid0(VALU_DEP_3) | instskip(NEXT) | instid1(VALU_DEP_1)
	s_and_b32 vcc_lo, s1, s0
	v_add3_u32 v11, v1, v6, v2
	v_subrev_co_ci_u32_e32 v9, vcc_lo, 0, v17, vcc_lo
	s_mov_b32 s0, exec_lo
                                        ; implicit-def: $vgpr6
	s_delay_alu instid0(VALU_DEP_2) | instskip(NEXT) | instid1(VALU_DEP_2)
	v_add_nc_u32_e32 v12, -1, v11
	v_and_b32_e32 v1, 0xfffff, v9
	s_delay_alu instid0(VALU_DEP_1) | instskip(SKIP_1) | instid1(VALU_DEP_4)
	v_add_co_u32 v1, vcc_lo, v1, v17
	v_add_co_ci_u32_e32 v2, vcc_lo, 0, v18, vcc_lo
	v_cmpx_ne_u32_e32 0, v12
	s_xor_b32 s0, exec_lo, s0
; %bb.76:                               ;   in Loop: Header=BB16_32 Depth=1
	s_delay_alu instid0(VALU_DEP_3) | instskip(SKIP_1) | instid1(VALU_DEP_2)
	v_and_b32_e32 v9, 0x1000000, v1
	v_bfe_u32 v6, v1, 24, 1
	v_cmp_eq_u64_e32 vcc_lo, 0, v[9:10]
	s_delay_alu instid0(VALU_DEP_2)
	v_lshrrev_b64 v[1:2], v6, v[1:2]
	v_cndmask_b32_e32 v6, v11, v12, vcc_lo
; %bb.77:                               ;   in Loop: Header=BB16_32 Depth=1
	s_and_not1_saveexec_b32 s0, s0
; %bb.78:                               ;   in Loop: Header=BB16_32 Depth=1
	s_delay_alu instid0(VALU_DEP_2)
	v_bfe_u32 v6, v1, 23, 1
; %bb.79:                               ;   in Loop: Header=BB16_32 Depth=1
	s_or_b32 exec_lo, exec_lo, s0
	s_delay_alu instid0(VALU_DEP_3) | instskip(NEXT) | instid1(VALU_DEP_2)
	v_lshrrev_b64 v[1:2], 20, v[1:2]
	v_cmp_gt_i32_e32 vcc_lo, 16, v6
	v_and_b32_e32 v5, 0x80, v5
	v_min_i32_e32 v9, 15, v6
	v_cmp_eq_u32_e64 s0, 0, v6
	v_dual_cndmask_b32 v2, 0, v2 :: v_dual_cndmask_b32 v1, 7, v1
	s_delay_alu instid0(VALU_DEP_3) | instskip(NEXT) | instid1(VALU_DEP_2)
	v_lshl_or_b32 v5, v9, 3, v5
	v_cmp_eq_u64_e32 vcc_lo, 0, v[1:2]
	s_delay_alu instid0(VALU_DEP_2)
	v_and_or_b32 v1, v1, 7, v5
	s_and_b32 s0, s0, vcc_lo
	s_delay_alu instid0(VALU_DEP_1) | instid1(SALU_CYCLE_1)
	v_cndmask_b32_e64 v1, v1, 0, s0
.LBB16_80:                              ;   in Loop: Header=BB16_32 Depth=1
	s_or_b32 exec_lo, exec_lo, s16
.LBB16_81:                              ;   in Loop: Header=BB16_32 Depth=1
	s_and_not1_saveexec_b32 s0, s15
	s_delay_alu instid0(SALU_CYCLE_1)
	s_or_b32 exec_lo, exec_lo, s0
.LBB16_82:                              ;   in Loop: Header=BB16_32 Depth=1
	s_and_not1_saveexec_b32 s0, s14
	s_delay_alu instid0(SALU_CYCLE_1) | instskip(SKIP_4) | instid1(VALU_DEP_2)
	s_or_b32 exec_lo, exec_lo, s0
	v_lshrrev_b32_e32 v2, 16, v7
	v_fma_mixlo_f16 v3, v13, v3, 0 op_sel:[0,1,0] op_sel_hi:[0,1,0]
	v_add_nc_u32_e32 v6, 4, v14
	s_mov_b32 s0, exec_lo
	v_mul_f16_e32 v2, v2, v3
	global_store_b8 v6, v1, s[2:3]
	v_cvt_f32_f16_e32 v2, v2
	s_delay_alu instid0(VALU_DEP_1) | instskip(NEXT) | instid1(VALU_DEP_1)
	v_mul_f32_e32 v2, v15, v2
	v_minmax_f32 v2, v2, s13, 0xc3600000
	s_delay_alu instid0(VALU_DEP_1) | instskip(SKIP_1) | instid1(VALU_DEP_2)
	v_lshrrev_b32_e32 v3, 24, v2
	v_and_b32_e32 v9, 0x7f800000, v2
	v_or_b32_e32 v5, 0x7f, v3
	s_delay_alu instid0(VALU_DEP_2)
	v_cmpx_ne_u64_e32 0x7f800000, v[9:10]
	s_xor_b32 s14, exec_lo, s0
	s_cbranch_execz .LBB16_92
; %bb.83:                               ;   in Loop: Header=BB16_32 Depth=1
	v_and_b32_e32 v9, 0x7fffffff, v2
	s_mov_b32 s0, exec_lo
	s_delay_alu instid0(VALU_DEP_1)
	v_cmpx_gt_u64_e32 0x43700001, v[9:10]
	s_xor_b32 s15, exec_lo, s0
	s_cbranch_execz .LBB16_91
; %bb.84:                               ;   in Loop: Header=BB16_32 Depth=1
	v_mov_b32_e32 v5, 0
	s_mov_b32 s16, exec_lo
	v_cmpx_ne_u32_e32 0, v2
	s_cbranch_execz .LBB16_90
; %bb.85:                               ;   in Loop: Header=BB16_32 Depth=1
	v_bfe_u32 v7, v2, 23, 8
	v_and_b32_e32 v2, 0x7fffff, v2
	s_delay_alu instid0(VALU_DEP_2) | instskip(SKIP_2) | instid1(VALU_DEP_3)
	v_sub_nc_u32_e64 v1, 0x78, v7 clamp
	v_cmp_eq_u32_e32 vcc_lo, 0, v7
	v_add_nc_u32_e32 v7, 0xffffff89, v7
	v_cndmask_b32_e64 v17, v1, 0x77, vcc_lo
	v_or_b32_e32 v1, 0x800000, v2
	s_delay_alu instid0(VALU_DEP_2) | instskip(NEXT) | instid1(VALU_DEP_2)
	v_add_nc_u32_e32 v5, 20, v17
	v_cndmask_b32_e32 v9, v1, v2, vcc_lo
	s_delay_alu instid0(VALU_DEP_2) | instskip(SKIP_1) | instid1(VALU_DEP_3)
	v_lshlrev_b64 v[1:2], v5, -1
	v_dual_mov_b32 v2, v10 :: v_dual_add_nc_u32 v5, 19, v17
	v_lshrrev_b64 v[11:12], v17, v[9:10]
	s_delay_alu instid0(VALU_DEP_3) | instskip(NEXT) | instid1(VALU_DEP_3)
	v_not_b32_e32 v1, v1
	v_lshlrev_b64 v[5:6], v5, 1
	s_delay_alu instid0(VALU_DEP_2) | instskip(NEXT) | instid1(VALU_DEP_4)
	v_and_b32_e32 v1, v9, v1
	v_and_b32_e32 v9, 0x100000, v11
	s_delay_alu instid0(VALU_DEP_2) | instskip(NEXT) | instid1(VALU_DEP_2)
	v_cmp_eq_u64_e64 s0, v[1:2], v[5:6]
	v_cmp_eq_u64_e64 s1, 0, v[9:10]
	v_cndmask_b32_e64 v1, v7, 0xffffff8a, vcc_lo
	v_lshrrev_b32_e32 v2, 23, v11
	s_delay_alu instid0(VALU_DEP_3) | instskip(NEXT) | instid1(VALU_DEP_1)
	s_and_b32 vcc_lo, s1, s0
	v_add3_u32 v6, v1, v17, v2
	v_subrev_co_ci_u32_e32 v5, vcc_lo, 0, v11, vcc_lo
	s_mov_b32 s0, exec_lo
	s_delay_alu instid0(VALU_DEP_2) | instskip(NEXT) | instid1(VALU_DEP_2)
	v_add_nc_u32_e32 v7, -1, v6
	v_and_b32_e32 v1, 0xfffff, v5
                                        ; implicit-def: $vgpr5
	s_delay_alu instid0(VALU_DEP_1) | instskip(SKIP_1) | instid1(VALU_DEP_4)
	v_add_co_u32 v1, vcc_lo, v1, v11
	v_add_co_ci_u32_e32 v2, vcc_lo, 0, v12, vcc_lo
	v_cmpx_ne_u32_e32 0, v7
	s_xor_b32 s0, exec_lo, s0
; %bb.86:                               ;   in Loop: Header=BB16_32 Depth=1
	s_delay_alu instid0(VALU_DEP_3) | instskip(SKIP_1) | instid1(VALU_DEP_2)
	v_and_b32_e32 v9, 0x1000000, v1
	v_bfe_u32 v5, v1, 24, 1
	v_cmp_eq_u64_e32 vcc_lo, 0, v[9:10]
	s_delay_alu instid0(VALU_DEP_2)
	v_lshrrev_b64 v[1:2], v5, v[1:2]
	v_cndmask_b32_e32 v5, v6, v7, vcc_lo
; %bb.87:                               ;   in Loop: Header=BB16_32 Depth=1
	s_and_not1_saveexec_b32 s0, s0
; %bb.88:                               ;   in Loop: Header=BB16_32 Depth=1
	s_delay_alu instid0(VALU_DEP_2)
	v_bfe_u32 v5, v1, 23, 1
; %bb.89:                               ;   in Loop: Header=BB16_32 Depth=1
	s_or_b32 exec_lo, exec_lo, s0
	s_delay_alu instid0(VALU_DEP_3) | instskip(NEXT) | instid1(VALU_DEP_2)
	v_lshrrev_b64 v[1:2], 20, v[1:2]
	v_cmp_gt_i32_e32 vcc_lo, 16, v5
	v_and_b32_e32 v3, 0x80, v3
	v_min_i32_e32 v6, 15, v5
	v_cmp_eq_u32_e64 s0, 0, v5
	v_dual_cndmask_b32 v2, 0, v2 :: v_dual_cndmask_b32 v1, 7, v1
	s_delay_alu instid0(VALU_DEP_3) | instskip(NEXT) | instid1(VALU_DEP_2)
	v_lshl_or_b32 v3, v6, 3, v3
	v_cmp_eq_u64_e32 vcc_lo, 0, v[1:2]
	s_delay_alu instid0(VALU_DEP_2)
	v_and_or_b32 v1, v1, 7, v3
	s_and_b32 s0, s0, vcc_lo
	s_delay_alu instid0(VALU_DEP_1) | instid1(SALU_CYCLE_1)
	v_cndmask_b32_e64 v5, v1, 0, s0
.LBB16_90:                              ;   in Loop: Header=BB16_32 Depth=1
	s_or_b32 exec_lo, exec_lo, s16
.LBB16_91:                              ;   in Loop: Header=BB16_32 Depth=1
	s_and_not1_saveexec_b32 s0, s15
	s_delay_alu instid0(SALU_CYCLE_1)
	s_or_b32 exec_lo, exec_lo, s0
.LBB16_92:                              ;   in Loop: Header=BB16_32 Depth=1
	s_and_not1_saveexec_b32 s0, s14
	s_delay_alu instid0(SALU_CYCLE_1) | instskip(SKIP_3) | instid1(VALU_DEP_2)
	s_or_b32 exec_lo, exec_lo, s0
	v_fma_mixlo_f16 v1, v13, v4, 0 op_sel_hi:[0,1,0]
	s_mov_b32 s0, exec_lo
	v_add_nc_u32_e32 v6, 5, v14
	v_mul_f16_e32 v1, v8, v1
	global_store_b8 v6, v5, s[2:3]
	v_cvt_f32_f16_e32 v1, v1
	s_delay_alu instid0(VALU_DEP_1) | instskip(NEXT) | instid1(VALU_DEP_1)
	v_mul_f32_e32 v1, v15, v1
	v_minmax_f32 v1, v1, s13, 0xc3600000
	s_delay_alu instid0(VALU_DEP_1) | instskip(SKIP_1) | instid1(VALU_DEP_2)
	v_lshrrev_b32_e32 v3, 24, v1
	v_and_b32_e32 v9, 0x7f800000, v1
	v_or_b32_e32 v2, 0x7f, v3
	s_delay_alu instid0(VALU_DEP_2)
	v_cmpx_ne_u64_e32 0x7f800000, v[9:10]
	s_xor_b32 s14, exec_lo, s0
	s_cbranch_execz .LBB16_102
; %bb.93:                               ;   in Loop: Header=BB16_32 Depth=1
	v_and_b32_e32 v9, 0x7fffffff, v1
	s_mov_b32 s0, exec_lo
	s_delay_alu instid0(VALU_DEP_1)
	v_cmpx_gt_u64_e32 0x43700001, v[9:10]
	s_xor_b32 s15, exec_lo, s0
	s_cbranch_execz .LBB16_101
; %bb.94:                               ;   in Loop: Header=BB16_32 Depth=1
	v_mov_b32_e32 v2, 0
	s_mov_b32 s16, exec_lo
	v_cmpx_ne_u32_e32 0, v1
	s_cbranch_execz .LBB16_100
; %bb.95:                               ;   in Loop: Header=BB16_32 Depth=1
	v_bfe_u32 v7, v1, 23, 8
	v_and_b32_e32 v1, 0x7fffff, v1
	s_delay_alu instid0(VALU_DEP_2) | instskip(SKIP_2) | instid1(VALU_DEP_3)
	v_sub_nc_u32_e64 v2, 0x78, v7 clamp
	v_cmp_eq_u32_e32 vcc_lo, 0, v7
	v_add_nc_u32_e32 v7, 0xffffff89, v7
	v_cndmask_b32_e64 v17, v2, 0x77, vcc_lo
	v_or_b32_e32 v2, 0x800000, v1
	s_delay_alu instid0(VALU_DEP_2) | instskip(NEXT) | instid1(VALU_DEP_2)
	v_add_nc_u32_e32 v5, 20, v17
	v_cndmask_b32_e32 v9, v2, v1, vcc_lo
	s_delay_alu instid0(VALU_DEP_2) | instskip(SKIP_1) | instid1(VALU_DEP_3)
	v_lshlrev_b64 v[1:2], v5, -1
	v_dual_mov_b32 v2, v10 :: v_dual_add_nc_u32 v5, 19, v17
	v_lshrrev_b64 v[11:12], v17, v[9:10]
	s_delay_alu instid0(VALU_DEP_3) | instskip(NEXT) | instid1(VALU_DEP_3)
	v_not_b32_e32 v1, v1
	v_lshlrev_b64 v[5:6], v5, 1
	s_delay_alu instid0(VALU_DEP_2) | instskip(NEXT) | instid1(VALU_DEP_4)
	v_and_b32_e32 v1, v9, v1
	v_and_b32_e32 v9, 0x100000, v11
	s_delay_alu instid0(VALU_DEP_2) | instskip(NEXT) | instid1(VALU_DEP_2)
	v_cmp_eq_u64_e64 s0, v[1:2], v[5:6]
	v_cmp_eq_u64_e64 s1, 0, v[9:10]
	v_cndmask_b32_e64 v1, v7, 0xffffff8a, vcc_lo
	v_lshrrev_b32_e32 v2, 23, v11
	s_delay_alu instid0(VALU_DEP_3) | instskip(NEXT) | instid1(VALU_DEP_1)
	s_and_b32 vcc_lo, s1, s0
	v_add3_u32 v6, v1, v17, v2
	v_subrev_co_ci_u32_e32 v5, vcc_lo, 0, v11, vcc_lo
	s_mov_b32 s0, exec_lo
	s_delay_alu instid0(VALU_DEP_2) | instskip(NEXT) | instid1(VALU_DEP_2)
	v_add_nc_u32_e32 v7, -1, v6
	v_and_b32_e32 v1, 0xfffff, v5
                                        ; implicit-def: $vgpr5
	s_delay_alu instid0(VALU_DEP_1) | instskip(SKIP_1) | instid1(VALU_DEP_4)
	v_add_co_u32 v1, vcc_lo, v1, v11
	v_add_co_ci_u32_e32 v2, vcc_lo, 0, v12, vcc_lo
	v_cmpx_ne_u32_e32 0, v7
	s_xor_b32 s0, exec_lo, s0
; %bb.96:                               ;   in Loop: Header=BB16_32 Depth=1
	s_delay_alu instid0(VALU_DEP_3) | instskip(SKIP_1) | instid1(VALU_DEP_2)
	v_and_b32_e32 v9, 0x1000000, v1
	v_bfe_u32 v5, v1, 24, 1
	v_cmp_eq_u64_e32 vcc_lo, 0, v[9:10]
	s_delay_alu instid0(VALU_DEP_2)
	v_lshrrev_b64 v[1:2], v5, v[1:2]
	v_cndmask_b32_e32 v5, v6, v7, vcc_lo
; %bb.97:                               ;   in Loop: Header=BB16_32 Depth=1
	s_and_not1_saveexec_b32 s0, s0
; %bb.98:                               ;   in Loop: Header=BB16_32 Depth=1
	s_delay_alu instid0(VALU_DEP_2)
	v_bfe_u32 v5, v1, 23, 1
; %bb.99:                               ;   in Loop: Header=BB16_32 Depth=1
	s_or_b32 exec_lo, exec_lo, s0
	s_delay_alu instid0(VALU_DEP_3) | instskip(NEXT) | instid1(VALU_DEP_2)
	v_lshrrev_b64 v[1:2], 20, v[1:2]
	v_cmp_gt_i32_e32 vcc_lo, 16, v5
	v_and_b32_e32 v3, 0x80, v3
	v_min_i32_e32 v6, 15, v5
	v_cmp_eq_u32_e64 s0, 0, v5
	v_dual_cndmask_b32 v2, 0, v2 :: v_dual_cndmask_b32 v1, 7, v1
	s_delay_alu instid0(VALU_DEP_3) | instskip(NEXT) | instid1(VALU_DEP_2)
	v_lshl_or_b32 v3, v6, 3, v3
	v_cmp_eq_u64_e32 vcc_lo, 0, v[1:2]
	s_delay_alu instid0(VALU_DEP_2)
	v_and_or_b32 v1, v1, 7, v3
	s_and_b32 s0, s0, vcc_lo
	s_delay_alu instid0(VALU_DEP_1) | instid1(SALU_CYCLE_1)
	v_cndmask_b32_e64 v2, v1, 0, s0
.LBB16_100:                             ;   in Loop: Header=BB16_32 Depth=1
	s_or_b32 exec_lo, exec_lo, s16
.LBB16_101:                             ;   in Loop: Header=BB16_32 Depth=1
	s_and_not1_saveexec_b32 s0, s15
	s_delay_alu instid0(SALU_CYCLE_1)
	s_or_b32 exec_lo, exec_lo, s0
.LBB16_102:                             ;   in Loop: Header=BB16_32 Depth=1
	s_and_not1_saveexec_b32 s0, s14
	s_delay_alu instid0(SALU_CYCLE_1) | instskip(SKIP_4) | instid1(VALU_DEP_2)
	s_or_b32 exec_lo, exec_lo, s0
	v_lshrrev_b32_e32 v1, 16, v8
	v_fma_mixlo_f16 v3, v13, v4, 0 op_sel:[0,1,0] op_sel_hi:[0,1,0]
	v_add_nc_u32_e32 v5, 6, v14
	s_mov_b32 s0, exec_lo
	v_mul_f16_e32 v1, v1, v3
	global_store_b8 v5, v2, s[2:3]
	v_cvt_f32_f16_e32 v1, v1
	s_delay_alu instid0(VALU_DEP_1) | instskip(NEXT) | instid1(VALU_DEP_1)
	v_mul_f32_e32 v1, v15, v1
	v_minmax_f32 v4, v1, s13, 0xc3600000
	s_delay_alu instid0(VALU_DEP_1) | instskip(SKIP_1) | instid1(VALU_DEP_2)
	v_lshrrev_b32_e32 v3, 24, v4
	v_and_b32_e32 v9, 0x7f800000, v4
	v_or_b32_e32 v1, 0x7f, v3
	s_delay_alu instid0(VALU_DEP_2)
	v_cmpx_ne_u64_e32 0x7f800000, v[9:10]
	s_xor_b32 s14, exec_lo, s0
	s_cbranch_execz .LBB16_31
; %bb.103:                              ;   in Loop: Header=BB16_32 Depth=1
	v_and_b32_e32 v9, 0x7fffffff, v4
	s_mov_b32 s0, exec_lo
	s_delay_alu instid0(VALU_DEP_1)
	v_cmpx_gt_u64_e32 0x43700001, v[9:10]
	s_xor_b32 s15, exec_lo, s0
	s_cbranch_execz .LBB16_30
; %bb.104:                              ;   in Loop: Header=BB16_32 Depth=1
	v_mov_b32_e32 v1, 0
	s_mov_b32 s16, exec_lo
	v_cmpx_ne_u32_e32 0, v4
	s_cbranch_execz .LBB16_29
; %bb.105:                              ;   in Loop: Header=BB16_32 Depth=1
	v_bfe_u32 v6, v4, 23, 8
	v_and_b32_e32 v2, 0x7fffff, v4
	s_delay_alu instid0(VALU_DEP_2) | instskip(SKIP_2) | instid1(VALU_DEP_3)
	v_sub_nc_u32_e64 v1, 0x78, v6 clamp
	v_cmp_eq_u32_e32 vcc_lo, 0, v6
	v_add_nc_u32_e32 v6, 0xffffff89, v6
	v_cndmask_b32_e64 v11, v1, 0x77, vcc_lo
	v_or_b32_e32 v1, 0x800000, v2
	s_delay_alu instid0(VALU_DEP_1) | instskip(NEXT) | instid1(VALU_DEP_1)
	v_dual_cndmask_b32 v9, v1, v2 :: v_dual_add_nc_u32 v4, 20, v11
	v_lshlrev_b64 v[1:2], v4, -1
	v_add_nc_u32_e32 v4, 19, v11
	s_delay_alu instid0(VALU_DEP_3) | instskip(NEXT) | instid1(VALU_DEP_2)
	v_lshrrev_b64 v[7:8], v11, v[9:10]
	v_lshlrev_b64 v[4:5], v4, 1
	s_delay_alu instid0(VALU_DEP_4) | instskip(NEXT) | instid1(VALU_DEP_1)
	v_not_b32_e32 v1, v1
	v_dual_mov_b32 v2, v10 :: v_dual_and_b32 v1, v9, v1
	s_delay_alu instid0(VALU_DEP_4) | instskip(NEXT) | instid1(VALU_DEP_2)
	v_and_b32_e32 v9, 0x100000, v7
	v_cmp_eq_u64_e64 s0, v[1:2], v[4:5]
	s_delay_alu instid0(VALU_DEP_2) | instskip(SKIP_2) | instid1(VALU_DEP_3)
	v_cmp_eq_u64_e64 s1, 0, v[9:10]
	v_cndmask_b32_e64 v1, v6, 0xffffff8a, vcc_lo
	v_lshrrev_b32_e32 v2, 23, v7
	s_and_b32 vcc_lo, s1, s0
	s_delay_alu instid0(VALU_DEP_1) | instskip(SKIP_2) | instid1(VALU_DEP_2)
	v_add3_u32 v5, v1, v11, v2
	v_subrev_co_ci_u32_e32 v4, vcc_lo, 0, v7, vcc_lo
	s_mov_b32 s0, exec_lo
	v_add_nc_u32_e32 v6, -1, v5
	s_delay_alu instid0(VALU_DEP_2) | instskip(NEXT) | instid1(VALU_DEP_1)
	v_and_b32_e32 v1, 0xfffff, v4
                                        ; implicit-def: $vgpr4
	v_add_co_u32 v1, vcc_lo, v1, v7
	v_add_co_ci_u32_e32 v2, vcc_lo, 0, v8, vcc_lo
	s_delay_alu instid0(VALU_DEP_4)
	v_cmpx_ne_u32_e32 0, v6
	s_xor_b32 s0, exec_lo, s0
; %bb.106:                              ;   in Loop: Header=BB16_32 Depth=1
	s_delay_alu instid0(VALU_DEP_3) | instskip(SKIP_1) | instid1(VALU_DEP_2)
	v_and_b32_e32 v9, 0x1000000, v1
	v_bfe_u32 v4, v1, 24, 1
	v_cmp_eq_u64_e32 vcc_lo, 0, v[9:10]
	s_delay_alu instid0(VALU_DEP_2)
	v_lshrrev_b64 v[1:2], v4, v[1:2]
	v_cndmask_b32_e32 v4, v5, v6, vcc_lo
; %bb.107:                              ;   in Loop: Header=BB16_32 Depth=1
	s_and_not1_saveexec_b32 s0, s0
	s_cbranch_execz .LBB16_28
; %bb.108:                              ;   in Loop: Header=BB16_32 Depth=1
	s_delay_alu instid0(VALU_DEP_2)
	v_bfe_u32 v4, v1, 23, 1
	s_branch .LBB16_28
.LBB16_109:
	s_nop 0
	s_sendmsg sendmsg(MSG_DEALLOC_VGPRS)
	s_endpgm
	.section	.rodata,"a",@progbits
	.p2align	6, 0x0
	.amdhsa_kernel _ZN4vllm32rms_norm_static_fp8_quant_kernelIN3c104HalfENS1_15Float8_e4m3fnuzELi8EEEvPT0_PKT_iS8_PKffii
		.amdhsa_group_segment_fixed_size 132
		.amdhsa_private_segment_fixed_size 0
		.amdhsa_kernarg_size 312
		.amdhsa_user_sgpr_count 15
		.amdhsa_user_sgpr_dispatch_ptr 0
		.amdhsa_user_sgpr_queue_ptr 0
		.amdhsa_user_sgpr_kernarg_segment_ptr 1
		.amdhsa_user_sgpr_dispatch_id 0
		.amdhsa_user_sgpr_private_segment_size 0
		.amdhsa_wavefront_size32 1
		.amdhsa_uses_dynamic_stack 0
		.amdhsa_enable_private_segment 0
		.amdhsa_system_sgpr_workgroup_id_x 1
		.amdhsa_system_sgpr_workgroup_id_y 0
		.amdhsa_system_sgpr_workgroup_id_z 0
		.amdhsa_system_sgpr_workgroup_info 0
		.amdhsa_system_vgpr_workitem_id 0
		.amdhsa_next_free_vgpr 24
		.amdhsa_next_free_sgpr 20
		.amdhsa_reserve_vcc 1
		.amdhsa_float_round_mode_32 0
		.amdhsa_float_round_mode_16_64 0
		.amdhsa_float_denorm_mode_32 3
		.amdhsa_float_denorm_mode_16_64 3
		.amdhsa_dx10_clamp 1
		.amdhsa_ieee_mode 1
		.amdhsa_fp16_overflow 0
		.amdhsa_workgroup_processor_mode 1
		.amdhsa_memory_ordered 1
		.amdhsa_forward_progress 0
		.amdhsa_shared_vgpr_count 0
		.amdhsa_exception_fp_ieee_invalid_op 0
		.amdhsa_exception_fp_denorm_src 0
		.amdhsa_exception_fp_ieee_div_zero 0
		.amdhsa_exception_fp_ieee_overflow 0
		.amdhsa_exception_fp_ieee_underflow 0
		.amdhsa_exception_fp_ieee_inexact 0
		.amdhsa_exception_int_div_zero 0
	.end_amdhsa_kernel
	.section	.text._ZN4vllm32rms_norm_static_fp8_quant_kernelIN3c104HalfENS1_15Float8_e4m3fnuzELi8EEEvPT0_PKT_iS8_PKffii,"axG",@progbits,_ZN4vllm32rms_norm_static_fp8_quant_kernelIN3c104HalfENS1_15Float8_e4m3fnuzELi8EEEvPT0_PKT_iS8_PKffii,comdat
.Lfunc_end16:
	.size	_ZN4vllm32rms_norm_static_fp8_quant_kernelIN3c104HalfENS1_15Float8_e4m3fnuzELi8EEEvPT0_PKT_iS8_PKffii, .Lfunc_end16-_ZN4vllm32rms_norm_static_fp8_quant_kernelIN3c104HalfENS1_15Float8_e4m3fnuzELi8EEEvPT0_PKT_iS8_PKffii
                                        ; -- End function
	.section	.AMDGPU.csdata,"",@progbits
; Kernel info:
; codeLenInByte = 6448
; NumSgprs: 22
; NumVgprs: 24
; ScratchSize: 0
; MemoryBound: 0
; FloatMode: 240
; IeeeMode: 1
; LDSByteSize: 132 bytes/workgroup (compile time only)
; SGPRBlocks: 2
; VGPRBlocks: 2
; NumSGPRsForWavesPerEU: 22
; NumVGPRsForWavesPerEU: 24
; Occupancy: 16
; WaveLimiterHint : 0
; COMPUTE_PGM_RSRC2:SCRATCH_EN: 0
; COMPUTE_PGM_RSRC2:USER_SGPR: 15
; COMPUTE_PGM_RSRC2:TRAP_HANDLER: 0
; COMPUTE_PGM_RSRC2:TGID_X_EN: 1
; COMPUTE_PGM_RSRC2:TGID_Y_EN: 0
; COMPUTE_PGM_RSRC2:TGID_Z_EN: 0
; COMPUTE_PGM_RSRC2:TIDIG_COMP_CNT: 0
	.section	.text._ZN4vllm32rms_norm_static_fp8_quant_kernelIN3c104HalfENS1_15Float8_e4m3fnuzELi4EEEvPT0_PKT_iS8_PKffii,"axG",@progbits,_ZN4vllm32rms_norm_static_fp8_quant_kernelIN3c104HalfENS1_15Float8_e4m3fnuzELi4EEEvPT0_PKT_iS8_PKffii,comdat
	.protected	_ZN4vllm32rms_norm_static_fp8_quant_kernelIN3c104HalfENS1_15Float8_e4m3fnuzELi4EEEvPT0_PKT_iS8_PKffii ; -- Begin function _ZN4vllm32rms_norm_static_fp8_quant_kernelIN3c104HalfENS1_15Float8_e4m3fnuzELi4EEEvPT0_PKT_iS8_PKffii
	.globl	_ZN4vllm32rms_norm_static_fp8_quant_kernelIN3c104HalfENS1_15Float8_e4m3fnuzELi4EEEvPT0_PKT_iS8_PKffii
	.p2align	8
	.type	_ZN4vllm32rms_norm_static_fp8_quant_kernelIN3c104HalfENS1_15Float8_e4m3fnuzELi4EEEvPT0_PKT_iS8_PKffii,@function
_ZN4vllm32rms_norm_static_fp8_quant_kernelIN3c104HalfENS1_15Float8_e4m3fnuzELi4EEEvPT0_PKT_iS8_PKffii: ; @_ZN4vllm32rms_norm_static_fp8_quant_kernelIN3c104HalfENS1_15Float8_e4m3fnuzELi4EEEvPT0_PKT_iS8_PKffii
; %bb.0:
	s_clause 0x3
	s_load_b32 s2, s[0:1], 0x10
	s_load_b64 s[4:5], s[0:1], 0x8
	s_load_b32 s8, s[0:1], 0x44
	s_load_b32 s13, s[0:1], 0x30
	s_mov_b32 s3, 0
	s_waitcnt lgkmcnt(0)
	s_mul_i32 s2, s15, s2
	s_delay_alu instid0(SALU_CYCLE_1) | instskip(NEXT) | instid1(SALU_CYCLE_1)
	s_lshl_b64 s[6:7], s[2:3], 1
	s_add_u32 s10, s4, s6
	s_addc_u32 s11, s5, s7
	s_and_b32 s2, s10, 7
	s_and_b32 s12, s8, 0xffff
	s_cmp_lg_u64 s[2:3], 0
	s_cselect_b32 s2, -1, 0
	s_and_b32 s3, s13, 3
	s_delay_alu instid0(SALU_CYCLE_1) | instskip(SKIP_1) | instid1(SALU_CYCLE_1)
	s_cmp_lg_u32 s3, 0
	s_cselect_b32 s3, -1, 0
	s_or_b32 s2, s2, s3
	s_delay_alu instid0(SALU_CYCLE_1)
	s_and_b32 vcc_lo, exec_lo, s2
	s_cbranch_vccz .LBB17_14
; %bb.1:
	s_sub_i32 s2, 0, s10
	v_mov_b32_e32 v4, 0
	s_bfe_u32 s2, s2, 0x20001
	s_mov_b32 s3, exec_lo
	s_min_i32 s8, s2, s13
	s_delay_alu instid0(SALU_CYCLE_1)
	v_cmpx_gt_i32_e64 s8, v0
	s_cbranch_execz .LBB17_5
; %bb.2:
	v_dual_mov_b32 v4, 0 :: v_dual_lshlrev_b32 v1, 1, v0
	s_add_u32 s2, s4, s6
	s_addc_u32 s9, s5, s7
	v_mov_b32_e32 v3, v0
	s_delay_alu instid0(VALU_DEP_2) | instskip(NEXT) | instid1(VALU_DEP_1)
	v_add_co_u32 v1, s2, s2, v1
	v_add_co_ci_u32_e64 v2, null, s9, 0, s2
	s_mov_b32 s9, 0
	s_lshl_b32 s14, s12, 1
.LBB17_3:                               ; =>This Inner Loop Header: Depth=1
	global_load_u16 v5, v[1:2], off
	v_add_nc_u32_e32 v3, s12, v3
	v_add_co_u32 v1, vcc_lo, v1, s14
	v_add_co_ci_u32_e32 v2, vcc_lo, 0, v2, vcc_lo
	s_delay_alu instid0(VALU_DEP_3) | instskip(NEXT) | instid1(VALU_DEP_1)
	v_cmp_le_i32_e64 s2, s8, v3
	s_or_b32 s9, s2, s9
	s_waitcnt vmcnt(0)
	v_fma_mix_f32 v4, v5, v5, v4 op_sel_hi:[1,1,0]
	s_and_not1_b32 exec_lo, exec_lo, s9
	s_cbranch_execnz .LBB17_3
; %bb.4:
	s_or_b32 exec_lo, exec_lo, s9
.LBB17_5:
	s_delay_alu instid0(SALU_CYCLE_1)
	s_or_b32 exec_lo, exec_lo, s3
	s_sub_i32 s3, s13, s8
	s_ashr_i32 s9, s8, 31
	s_ashr_i32 s2, s3, 31
	s_mov_b32 s16, exec_lo
	s_lshr_b32 s2, s2, 30
	s_delay_alu instid0(SALU_CYCLE_1) | instskip(NEXT) | instid1(SALU_CYCLE_1)
	s_add_i32 s2, s3, s2
	s_ashr_i32 s14, s2, 2
	s_delay_alu instid0(SALU_CYCLE_1)
	v_cmpx_gt_i32_e64 s14, v0
	s_cbranch_execz .LBB17_9
; %bb.6:
	v_lshlrev_b32_e32 v1, 3, v0
	s_lshl_b64 s[18:19], s[8:9], 1
	s_add_u32 s2, s4, s6
	s_addc_u32 s17, s5, s7
	s_add_u32 s2, s2, s18
	s_addc_u32 s17, s17, s19
	v_add_co_u32 v1, s2, s2, v1
	s_delay_alu instid0(VALU_DEP_1) | instskip(SKIP_1) | instid1(VALU_DEP_3)
	v_add_co_ci_u32_e64 v2, null, s17, 0, s2
	v_mov_b32_e32 v3, v0
	v_add_co_u32 v1, vcc_lo, v1, 4
	s_delay_alu instid0(VALU_DEP_3)
	v_add_co_ci_u32_e32 v2, vcc_lo, 0, v2, vcc_lo
	s_mov_b32 s17, 0
	s_lshl_b32 s18, s12, 3
	.p2align	6
.LBB17_7:                               ; =>This Inner Loop Header: Depth=1
	global_load_b64 v[5:6], v[1:2], off offset:-4
	v_add_nc_u32_e32 v3, s12, v3
	v_add_co_u32 v1, vcc_lo, v1, s18
	v_add_co_ci_u32_e32 v2, vcc_lo, 0, v2, vcc_lo
	s_delay_alu instid0(VALU_DEP_3) | instskip(NEXT) | instid1(VALU_DEP_1)
	v_cmp_le_i32_e64 s2, s14, v3
	s_or_b32 s17, s2, s17
	s_waitcnt vmcnt(0)
	v_fma_mix_f32 v4, v5, v5, v4 op_sel_hi:[1,1,0]
	s_delay_alu instid0(VALU_DEP_1) | instskip(NEXT) | instid1(VALU_DEP_1)
	v_fma_mix_f32 v4, v5, v5, v4 op_sel:[1,1,0] op_sel_hi:[1,1,0]
	v_fma_mix_f32 v4, v6, v6, v4 op_sel_hi:[1,1,0]
	s_delay_alu instid0(VALU_DEP_1)
	v_fma_mix_f32 v4, v6, v6, v4 op_sel:[1,1,0] op_sel_hi:[1,1,0]
	s_and_not1_b32 exec_lo, exec_lo, s17
	s_cbranch_execnz .LBB17_7
; %bb.8:
	s_or_b32 exec_lo, exec_lo, s17
.LBB17_9:
	s_delay_alu instid0(SALU_CYCLE_1) | instskip(SKIP_2) | instid1(VALU_DEP_1)
	s_or_b32 exec_lo, exec_lo, s16
	v_lshl_add_u32 v1, s14, 2, v0
	s_mov_b32 s14, exec_lo
	v_cmpx_gt_i32_e64 s3, v1
	s_cbranch_execz .LBB17_13
; %bb.10:
	v_ashrrev_i32_e32 v2, 31, v1
	s_lshl_b64 s[8:9], s[8:9], 1
	s_add_u32 s2, s4, s6
	s_addc_u32 s16, s5, s7
	s_add_u32 s2, s2, s8
	v_lshlrev_b64 v[2:3], 1, v[1:2]
	s_addc_u32 s8, s16, s9
	s_lshl_b32 s9, s12, 1
	s_delay_alu instid0(VALU_DEP_1) | instskip(NEXT) | instid1(VALU_DEP_2)
	v_add_co_u32 v2, vcc_lo, s2, v2
	v_add_co_ci_u32_e32 v3, vcc_lo, s8, v3, vcc_lo
	s_mov_b32 s8, 0
.LBB17_11:                              ; =>This Inner Loop Header: Depth=1
	global_load_u16 v5, v[2:3], off
	v_add_nc_u32_e32 v1, s12, v1
	v_add_co_u32 v2, vcc_lo, v2, s9
	v_add_co_ci_u32_e32 v3, vcc_lo, 0, v3, vcc_lo
	s_delay_alu instid0(VALU_DEP_3) | instskip(NEXT) | instid1(VALU_DEP_1)
	v_cmp_le_i32_e64 s2, s3, v1
	s_or_b32 s8, s2, s8
	s_waitcnt vmcnt(0)
	v_fma_mix_f32 v4, v5, v5, v4 op_sel_hi:[1,1,0]
	s_and_not1_b32 exec_lo, exec_lo, s8
	s_cbranch_execnz .LBB17_11
; %bb.12:
	s_or_b32 exec_lo, exec_lo, s8
.LBB17_13:
	s_delay_alu instid0(SALU_CYCLE_1)
	s_or_b32 exec_lo, exec_lo, s14
	s_branch .LBB17_20
.LBB17_14:
                                        ; implicit-def: $vgpr4
	s_cbranch_execz .LBB17_20
; %bb.15:
	v_mov_b32_e32 v4, 0
	s_ashr_i32 s8, s13, 2
	s_mov_b32 s3, exec_lo
	v_cmpx_gt_i32_e64 s8, v0
	s_cbranch_execz .LBB17_19
; %bb.16:
	v_dual_mov_b32 v4, 0 :: v_dual_lshlrev_b32 v1, 3, v0
	s_add_u32 s2, s4, s6
	s_addc_u32 s4, s5, s7
	v_mov_b32_e32 v3, v0
	s_delay_alu instid0(VALU_DEP_2) | instskip(NEXT) | instid1(VALU_DEP_1)
	v_add_co_u32 v1, s2, s2, v1
	v_add_co_ci_u32_e64 v2, null, s4, 0, s2
	s_mov_b32 s4, 0
	s_delay_alu instid0(VALU_DEP_2) | instskip(NEXT) | instid1(VALU_DEP_2)
	v_add_co_u32 v1, vcc_lo, v1, 4
	v_add_co_ci_u32_e32 v2, vcc_lo, 0, v2, vcc_lo
	s_lshl_b32 s5, s12, 3
	.p2align	6
.LBB17_17:                              ; =>This Inner Loop Header: Depth=1
	global_load_b64 v[5:6], v[1:2], off offset:-4
	v_add_nc_u32_e32 v3, s12, v3
	v_add_co_u32 v1, vcc_lo, v1, s5
	v_add_co_ci_u32_e32 v2, vcc_lo, 0, v2, vcc_lo
	s_delay_alu instid0(VALU_DEP_3) | instskip(NEXT) | instid1(VALU_DEP_1)
	v_cmp_le_i32_e64 s2, s8, v3
	s_or_b32 s4, s2, s4
	s_waitcnt vmcnt(0)
	v_fma_mix_f32 v4, v5, v5, v4 op_sel_hi:[1,1,0]
	s_delay_alu instid0(VALU_DEP_1) | instskip(NEXT) | instid1(VALU_DEP_1)
	v_fma_mix_f32 v4, v5, v5, v4 op_sel:[1,1,0] op_sel_hi:[1,1,0]
	v_fma_mix_f32 v4, v6, v6, v4 op_sel_hi:[1,1,0]
	s_delay_alu instid0(VALU_DEP_1)
	v_fma_mix_f32 v4, v6, v6, v4 op_sel:[1,1,0] op_sel_hi:[1,1,0]
	s_and_not1_b32 exec_lo, exec_lo, s4
	s_cbranch_execnz .LBB17_17
; %bb.18:
	s_or_b32 exec_lo, exec_lo, s4
.LBB17_19:
	s_delay_alu instid0(SALU_CYCLE_1)
	s_or_b32 exec_lo, exec_lo, s3
.LBB17_20:
	v_mbcnt_lo_u32_b32 v1, -1, 0
	v_and_b32_e32 v3, 0x3e0, v0
	s_mov_b32 s2, exec_lo
	s_delay_alu instid0(VALU_DEP_2) | instskip(NEXT) | instid1(VALU_DEP_2)
	v_cmp_ne_u32_e32 vcc_lo, 31, v1
	v_sub_nc_u32_e64 v12, s12, v3 clamp
	v_add_nc_u32_e32 v3, 1, v1
	v_add_co_ci_u32_e32 v2, vcc_lo, 0, v1, vcc_lo
	v_cmp_gt_u32_e32 vcc_lo, 30, v1
	s_delay_alu instid0(VALU_DEP_2)
	v_lshlrev_b32_e32 v2, 2, v2
	v_cndmask_b32_e64 v6, 0, 1, vcc_lo
	v_cmp_lt_u32_e32 vcc_lo, v3, v12
	ds_bpermute_b32 v5, v2, v4
	s_waitcnt lgkmcnt(0)
	v_dual_add_f32 v7, v4, v5 :: v_dual_lshlrev_b32 v6, 1, v6
	s_delay_alu instid0(VALU_DEP_1) | instskip(NEXT) | instid1(VALU_DEP_2)
	v_cndmask_b32_e32 v7, v4, v7, vcc_lo
	v_add_lshl_u32 v5, v6, v1, 2
	v_cmp_gt_u32_e32 vcc_lo, 28, v1
	ds_bpermute_b32 v6, v5, v7
	v_cndmask_b32_e64 v4, 0, 1, vcc_lo
	s_delay_alu instid0(VALU_DEP_1) | instskip(SKIP_1) | instid1(VALU_DEP_1)
	v_lshlrev_b32_e32 v8, 2, v4
	v_add_nc_u32_e32 v4, 2, v1
	v_cmp_lt_u32_e32 vcc_lo, v4, v12
	s_waitcnt lgkmcnt(0)
	v_add_f32_e32 v9, v7, v6
	v_add_lshl_u32 v6, v8, v1, 2
	s_delay_alu instid0(VALU_DEP_2) | instskip(SKIP_2) | instid1(VALU_DEP_1)
	v_cndmask_b32_e32 v9, v7, v9, vcc_lo
	v_cmp_gt_u32_e32 vcc_lo, 24, v1
	v_cndmask_b32_e64 v7, 0, 1, vcc_lo
	v_lshlrev_b32_e32 v10, 3, v7
	ds_bpermute_b32 v8, v6, v9
	v_add_nc_u32_e32 v7, 4, v1
	s_delay_alu instid0(VALU_DEP_1) | instskip(SKIP_3) | instid1(VALU_DEP_2)
	v_cmp_lt_u32_e32 vcc_lo, v7, v12
	s_waitcnt lgkmcnt(0)
	v_add_f32_e32 v11, v9, v8
	v_add_lshl_u32 v8, v10, v1, 2
	v_cndmask_b32_e32 v11, v9, v11, vcc_lo
	v_cmp_gt_u32_e32 vcc_lo, 16, v1
	ds_bpermute_b32 v10, v8, v11
	v_cndmask_b32_e64 v9, 0, 1, vcc_lo
	s_delay_alu instid0(VALU_DEP_1) | instskip(SKIP_1) | instid1(VALU_DEP_1)
	v_lshlrev_b32_e32 v13, 4, v9
	v_add_nc_u32_e32 v9, 8, v1
	v_cmp_lt_u32_e32 vcc_lo, v9, v12
	s_waitcnt lgkmcnt(0)
	v_add_f32_e32 v14, v11, v10
	v_add_lshl_u32 v10, v13, v1, 2
	s_delay_alu instid0(VALU_DEP_2)
	v_cndmask_b32_e32 v13, v11, v14, vcc_lo
	v_add_nc_u32_e32 v11, 16, v1
	ds_bpermute_b32 v14, v10, v13
	v_cmp_lt_u32_e32 vcc_lo, v11, v12
	s_waitcnt lgkmcnt(0)
	v_add_f32_e32 v14, v13, v14
	s_delay_alu instid0(VALU_DEP_1)
	v_cndmask_b32_e32 v12, v13, v14, vcc_lo
	v_cmpx_eq_u32_e32 0, v1
	s_cbranch_execz .LBB17_22
; %bb.21:
	v_lshrrev_b32_e32 v13, 3, v0
	s_delay_alu instid0(VALU_DEP_1)
	v_and_b32_e32 v13, 0x7c, v13
	ds_store_b32 v13, v12
.LBB17_22:
	s_or_b32 exec_lo, exec_lo, s2
	s_delay_alu instid0(SALU_CYCLE_1)
	s_mov_b32 s2, exec_lo
	s_waitcnt lgkmcnt(0)
	s_barrier
	buffer_gl0_inv
	v_cmpx_gt_u32_e32 32, v0
	s_cbranch_execz .LBB17_24
; %bb.23:
	v_lshlrev_b32_e32 v1, 2, v1
	s_add_i32 s3, s12, 31
	s_delay_alu instid0(SALU_CYCLE_1) | instskip(NEXT) | instid1(SALU_CYCLE_1)
	s_lshr_b32 s3, s3, 5
	v_cmp_gt_u32_e32 vcc_lo, s3, v3
	ds_load_b32 v1, v1
	s_waitcnt lgkmcnt(0)
	ds_bpermute_b32 v2, v2, v1
	s_waitcnt lgkmcnt(0)
	v_add_f32_e32 v2, v1, v2
	s_delay_alu instid0(VALU_DEP_1) | instskip(SKIP_4) | instid1(VALU_DEP_1)
	v_cndmask_b32_e32 v1, v1, v2, vcc_lo
	v_cmp_gt_u32_e32 vcc_lo, s3, v4
	ds_bpermute_b32 v2, v5, v1
	s_waitcnt lgkmcnt(0)
	v_add_f32_e32 v2, v1, v2
	v_cndmask_b32_e32 v1, v1, v2, vcc_lo
	v_cmp_gt_u32_e32 vcc_lo, s3, v7
	ds_bpermute_b32 v2, v6, v1
	s_waitcnt lgkmcnt(0)
	v_add_f32_e32 v2, v1, v2
	s_delay_alu instid0(VALU_DEP_1) | instskip(SKIP_4) | instid1(VALU_DEP_1)
	v_cndmask_b32_e32 v1, v1, v2, vcc_lo
	v_cmp_gt_u32_e32 vcc_lo, s3, v9
	ds_bpermute_b32 v2, v8, v1
	s_waitcnt lgkmcnt(0)
	v_add_f32_e32 v2, v1, v2
	v_cndmask_b32_e32 v1, v1, v2, vcc_lo
	v_cmp_gt_u32_e32 vcc_lo, s3, v11
	ds_bpermute_b32 v2, v10, v1
	s_waitcnt lgkmcnt(0)
	v_add_f32_e32 v2, v1, v2
	s_delay_alu instid0(VALU_DEP_1)
	v_cndmask_b32_e32 v12, v1, v2, vcc_lo
.LBB17_24:
	s_or_b32 exec_lo, exec_lo, s2
	s_delay_alu instid0(SALU_CYCLE_1)
	s_mov_b32 s2, exec_lo
	v_cmpx_eq_u32_e32 0, v0
	s_cbranch_execz .LBB17_26
; %bb.25:
	v_cvt_f32_i32_e32 v1, s13
	s_load_b32 s3, s[0:1], 0x28
	s_delay_alu instid0(VALU_DEP_1) | instskip(SKIP_1) | instid1(VALU_DEP_2)
	v_div_scale_f32 v2, null, v1, v1, v12
	v_div_scale_f32 v5, vcc_lo, v12, v1, v12
	v_rcp_f32_e32 v3, v2
	s_waitcnt_depctr 0xfff
	v_fma_f32 v4, -v2, v3, 1.0
	s_delay_alu instid0(VALU_DEP_1) | instskip(NEXT) | instid1(VALU_DEP_1)
	v_fmac_f32_e32 v3, v4, v3
	v_mul_f32_e32 v4, v5, v3
	s_delay_alu instid0(VALU_DEP_1) | instskip(NEXT) | instid1(VALU_DEP_1)
	v_fma_f32 v6, -v2, v4, v5
	v_fmac_f32_e32 v4, v6, v3
	s_delay_alu instid0(VALU_DEP_1) | instskip(NEXT) | instid1(VALU_DEP_1)
	v_fma_f32 v2, -v2, v4, v5
	v_div_fmas_f32 v2, v2, v3, v4
	s_delay_alu instid0(VALU_DEP_1) | instskip(SKIP_1) | instid1(VALU_DEP_1)
	v_div_fixup_f32 v1, v2, v1, v12
	s_waitcnt lgkmcnt(0)
	v_add_f32_e32 v1, s3, v1
	s_delay_alu instid0(VALU_DEP_1) | instskip(SKIP_1) | instid1(VALU_DEP_2)
	v_mul_f32_e32 v2, 0x4b800000, v1
	v_cmp_gt_f32_e32 vcc_lo, 0x800000, v1
	v_cndmask_b32_e32 v1, v1, v2, vcc_lo
	s_delay_alu instid0(VALU_DEP_1) | instskip(SKIP_2) | instid1(VALU_DEP_1)
	v_rsq_f32_e32 v1, v1
	s_waitcnt_depctr 0xfff
	v_mul_f32_e32 v2, 0x45800000, v1
	v_dual_cndmask_b32 v1, v1, v2 :: v_dual_mov_b32 v2, 0
	ds_store_b32 v2, v1 offset:128
.LBB17_26:
	s_or_b32 exec_lo, exec_lo, s2
	s_ashr_i32 s2, s13, 31
	s_waitcnt lgkmcnt(0)
	s_lshr_b32 s2, s2, 30
	s_barrier
	s_add_i32 s2, s13, s2
	buffer_gl0_inv
	s_ashr_i32 s8, s2, 2
	s_mov_b32 s2, exec_lo
	v_cmpx_gt_i32_e64 s8, v0
	s_cbranch_execz .LBB17_69
; %bb.27:
	s_clause 0x1
	s_load_b128 s[4:7], s[0:1], 0x18
	s_load_b64 s[2:3], s[0:1], 0x0
	s_mul_i32 s15, s15, s13
	s_lshl_b32 s9, s12, 3
	v_lshl_add_u32 v10, v0, 2, s15
	s_mov_b32 s13, 0x43600000
	v_lshlrev_b32_e32 v12, 3, v0
	s_waitcnt lgkmcnt(0)
	s_load_b32 s7, s[6:7], 0x0
	s_lshl_b32 s6, s12, 2
	s_waitcnt lgkmcnt(0)
	v_div_scale_f32 v1, null, s7, s7, 1.0
	v_div_scale_f32 v4, vcc_lo, 1.0, s7, 1.0
	s_delay_alu instid0(VALU_DEP_2) | instskip(SKIP_2) | instid1(VALU_DEP_1)
	v_rcp_f32_e32 v3, v1
	s_waitcnt_depctr 0xfff
	v_fma_f32 v2, -v1, v3, 1.0
	v_dual_fmac_f32 v3, v2, v3 :: v_dual_mov_b32 v2, 0
	s_delay_alu instid0(VALU_DEP_1) | instskip(SKIP_2) | instid1(VALU_DEP_1)
	v_mul_f32_e32 v5, v4, v3
	ds_load_b32 v9, v2 offset:128
	v_fma_f32 v6, -v1, v5, v4
	v_fmac_f32_e32 v5, v6, v3
	s_delay_alu instid0(VALU_DEP_1) | instskip(NEXT) | instid1(VALU_DEP_1)
	v_fma_f32 v1, -v1, v5, v4
	v_div_fmas_f32 v1, v1, v3, v5
	s_delay_alu instid0(VALU_DEP_1)
	v_div_fixup_f32 v11, v1, s7, 1.0
	s_mov_b32 s7, 0
	s_branch .LBB17_32
.LBB17_28:                              ;   in Loop: Header=BB17_32 Depth=1
	s_or_b32 exec_lo, exec_lo, s0
	s_delay_alu instid0(VALU_DEP_2) | instskip(NEXT) | instid1(VALU_DEP_2)
	v_lshrrev_b64 v[3:4], 20, v[3:4]
	v_cmp_gt_i32_e32 vcc_lo, 16, v1
	v_and_b32_e32 v5, 0x80, v5
	v_min_i32_e32 v6, 15, v1
	v_cmp_eq_u32_e64 s0, 0, v1
	v_dual_cndmask_b32 v4, 0, v4 :: v_dual_cndmask_b32 v3, 7, v3
	s_delay_alu instid0(VALU_DEP_3) | instskip(NEXT) | instid1(VALU_DEP_2)
	v_lshl_or_b32 v5, v6, 3, v5
	v_cmp_eq_u64_e32 vcc_lo, 0, v[3:4]
	s_delay_alu instid0(VALU_DEP_2)
	v_and_or_b32 v1, v3, 7, v5
	s_and_b32 s0, s0, vcc_lo
	s_delay_alu instid0(VALU_DEP_1) | instid1(SALU_CYCLE_1)
	v_cndmask_b32_e64 v3, v1, 0, s0
.LBB17_29:                              ;   in Loop: Header=BB17_32 Depth=1
	s_or_b32 exec_lo, exec_lo, s16
.LBB17_30:                              ;   in Loop: Header=BB17_32 Depth=1
	s_and_not1_saveexec_b32 s0, s15
	s_delay_alu instid0(SALU_CYCLE_1)
	s_or_b32 exec_lo, exec_lo, s0
.LBB17_31:                              ;   in Loop: Header=BB17_32 Depth=1
	s_and_not1_saveexec_b32 s0, s14
	s_delay_alu instid0(SALU_CYCLE_1)
	s_or_b32 exec_lo, exec_lo, s0
	v_add_nc_u32_e32 v0, s12, v0
	s_add_u32 s4, s4, s9
	v_add_nc_u32_e32 v1, 3, v10
	v_add_nc_u32_e32 v10, s6, v10
	s_addc_u32 s5, s5, 0
	v_cmp_le_i32_e32 vcc_lo, s8, v0
	s_add_u32 s10, s10, s9
	s_addc_u32 s11, s11, 0
	global_store_b8 v1, v3, s[2:3]
	s_or_b32 s7, vcc_lo, s7
	s_delay_alu instid0(SALU_CYCLE_1)
	s_and_not1_b32 exec_lo, exec_lo, s7
	s_cbranch_execz .LBB17_69
.LBB17_32:                              ; =>This Inner Loop Header: Depth=1
	v_add_co_u32 v3, s0, s10, v12
	s_delay_alu instid0(VALU_DEP_1) | instskip(SKIP_1) | instid1(VALU_DEP_1)
	v_add_co_ci_u32_e64 v4, null, s11, 0, s0
	v_add_co_u32 v5, s0, s4, v12
	v_add_co_ci_u32_e64 v6, null, s5, 0, s0
	global_load_b64 v[3:4], v[3:4], off
	s_mov_b32 s0, exec_lo
	global_load_b64 v[5:6], v[5:6], off
	s_waitcnt vmcnt(1) lgkmcnt(0)
	v_fma_mixlo_f16 v1, v9, v3, 0 op_sel_hi:[0,1,0]
	s_waitcnt vmcnt(0)
	s_delay_alu instid0(VALU_DEP_1) | instskip(NEXT) | instid1(VALU_DEP_1)
	v_mul_f16_e32 v1, v5, v1
	v_cvt_f32_f16_e32 v1, v1
	s_delay_alu instid0(VALU_DEP_1) | instskip(NEXT) | instid1(VALU_DEP_1)
	v_mul_f32_e32 v1, v11, v1
	v_minmax_f32 v8, v1, s13, 0xc3600000
	s_delay_alu instid0(VALU_DEP_1) | instskip(SKIP_1) | instid1(VALU_DEP_2)
	v_lshrrev_b32_e32 v13, 24, v8
	v_and_b32_e32 v1, 0x7f800000, v8
	v_or_b32_e32 v7, 0x7f, v13
	s_delay_alu instid0(VALU_DEP_2)
	v_cmpx_ne_u64_e32 0x7f800000, v[1:2]
	s_xor_b32 s14, exec_lo, s0
	s_cbranch_execz .LBB17_42
; %bb.33:                               ;   in Loop: Header=BB17_32 Depth=1
	v_and_b32_e32 v1, 0x7fffffff, v8
	s_mov_b32 s0, exec_lo
	s_delay_alu instid0(VALU_DEP_1)
	v_cmpx_gt_u64_e32 0x43700001, v[1:2]
	s_xor_b32 s15, exec_lo, s0
	s_cbranch_execz .LBB17_41
; %bb.34:                               ;   in Loop: Header=BB17_32 Depth=1
	v_mov_b32_e32 v7, 0
	s_mov_b32 s16, exec_lo
	v_cmpx_ne_u32_e32 0, v8
	s_cbranch_execz .LBB17_40
; %bb.35:                               ;   in Loop: Header=BB17_32 Depth=1
	v_bfe_u32 v18, v8, 23, 8
	v_and_b32_e32 v7, 0x7fffff, v8
	s_delay_alu instid0(VALU_DEP_2) | instskip(SKIP_2) | instid1(VALU_DEP_3)
	v_sub_nc_u32_e64 v1, 0x78, v18 clamp
	v_cmp_eq_u32_e32 vcc_lo, 0, v18
	v_add_nc_u32_e32 v18, 0xffffff89, v18
	v_cndmask_b32_e64 v19, v1, 0x77, vcc_lo
	v_or_b32_e32 v1, 0x800000, v7
	s_delay_alu instid0(VALU_DEP_2) | instskip(NEXT) | instid1(VALU_DEP_2)
	v_add_nc_u32_e32 v8, 20, v19
	v_cndmask_b32_e32 v1, v1, v7, vcc_lo
	v_add_nc_u32_e32 v14, 19, v19
	s_delay_alu instid0(VALU_DEP_3) | instskip(NEXT) | instid1(VALU_DEP_3)
	v_lshlrev_b64 v[7:8], v8, -1
	v_lshrrev_b64 v[16:17], v19, v[1:2]
	s_delay_alu instid0(VALU_DEP_3) | instskip(SKIP_1) | instid1(VALU_DEP_4)
	v_lshlrev_b64 v[14:15], v14, 1
	v_mov_b32_e32 v8, v2
	v_not_b32_e32 v7, v7
	s_delay_alu instid0(VALU_DEP_1) | instskip(SKIP_1) | instid1(VALU_DEP_2)
	v_and_b32_e32 v7, v1, v7
	v_and_b32_e32 v1, 0x100000, v16
	v_cmp_eq_u64_e64 s0, v[7:8], v[14:15]
	s_delay_alu instid0(VALU_DEP_2) | instskip(SKIP_2) | instid1(VALU_DEP_3)
	v_cmp_eq_u64_e64 s1, 0, v[1:2]
	v_cndmask_b32_e64 v1, v18, 0xffffff8a, vcc_lo
	v_lshrrev_b32_e32 v7, 23, v16
	s_and_b32 vcc_lo, s1, s0
	s_delay_alu instid0(VALU_DEP_1) | instskip(SKIP_2) | instid1(VALU_DEP_2)
	v_add3_u32 v14, v1, v19, v7
	v_subrev_co_ci_u32_e32 v8, vcc_lo, 0, v16, vcc_lo
	s_mov_b32 s0, exec_lo
	v_add_nc_u32_e32 v15, -1, v14
	s_delay_alu instid0(VALU_DEP_2) | instskip(NEXT) | instid1(VALU_DEP_1)
	v_and_b32_e32 v1, 0xfffff, v8
	v_add_co_u32 v7, vcc_lo, v1, v16
	v_add_co_ci_u32_e32 v8, vcc_lo, 0, v17, vcc_lo
                                        ; implicit-def: $vgpr1
	s_delay_alu instid0(VALU_DEP_4)
	v_cmpx_ne_u32_e32 0, v15
	s_xor_b32 s0, exec_lo, s0
; %bb.36:                               ;   in Loop: Header=BB17_32 Depth=1
	s_delay_alu instid0(VALU_DEP_3) | instskip(SKIP_1) | instid1(VALU_DEP_2)
	v_and_b32_e32 v1, 0x1000000, v7
	v_bfe_u32 v16, v7, 24, 1
	v_cmp_eq_u64_e32 vcc_lo, 0, v[1:2]
	s_delay_alu instid0(VALU_DEP_2)
	v_lshrrev_b64 v[7:8], v16, v[7:8]
	v_cndmask_b32_e32 v1, v14, v15, vcc_lo
; %bb.37:                               ;   in Loop: Header=BB17_32 Depth=1
	s_and_not1_saveexec_b32 s0, s0
; %bb.38:                               ;   in Loop: Header=BB17_32 Depth=1
	s_delay_alu instid0(VALU_DEP_2)
	v_bfe_u32 v1, v7, 23, 1
; %bb.39:                               ;   in Loop: Header=BB17_32 Depth=1
	s_or_b32 exec_lo, exec_lo, s0
	s_delay_alu instid0(VALU_DEP_3) | instskip(NEXT) | instid1(VALU_DEP_2)
	v_lshrrev_b64 v[7:8], 20, v[7:8]
	v_cmp_gt_i32_e32 vcc_lo, 16, v1
	v_and_b32_e32 v13, 0x80, v13
	v_min_i32_e32 v14, 15, v1
	v_cmp_eq_u32_e64 s0, 0, v1
	v_dual_cndmask_b32 v8, 0, v8 :: v_dual_cndmask_b32 v7, 7, v7
	s_delay_alu instid0(VALU_DEP_3) | instskip(NEXT) | instid1(VALU_DEP_2)
	v_lshl_or_b32 v13, v14, 3, v13
	v_cmp_eq_u64_e32 vcc_lo, 0, v[7:8]
	s_delay_alu instid0(VALU_DEP_2)
	v_and_or_b32 v1, v7, 7, v13
	s_and_b32 s0, s0, vcc_lo
	s_delay_alu instid0(VALU_DEP_1) | instid1(SALU_CYCLE_1)
	v_cndmask_b32_e64 v7, v1, 0, s0
.LBB17_40:                              ;   in Loop: Header=BB17_32 Depth=1
	s_or_b32 exec_lo, exec_lo, s16
.LBB17_41:                              ;   in Loop: Header=BB17_32 Depth=1
	s_and_not1_saveexec_b32 s0, s15
	s_delay_alu instid0(SALU_CYCLE_1)
	s_or_b32 exec_lo, exec_lo, s0
.LBB17_42:                              ;   in Loop: Header=BB17_32 Depth=1
	s_and_not1_saveexec_b32 s0, s14
	s_delay_alu instid0(SALU_CYCLE_1)
	s_or_b32 exec_lo, exec_lo, s0
	v_lshrrev_b32_e32 v1, 16, v5
	v_fma_mixlo_f16 v3, v9, v3, 0 op_sel:[0,1,0] op_sel_hi:[0,1,0]
	global_store_b8 v10, v7, s[2:3]
	s_mov_b32 s0, exec_lo
	v_mul_f16_e32 v1, v1, v3
	s_delay_alu instid0(VALU_DEP_1) | instskip(NEXT) | instid1(VALU_DEP_1)
	v_cvt_f32_f16_e32 v1, v1
	v_mul_f32_e32 v1, v11, v1
	s_delay_alu instid0(VALU_DEP_1) | instskip(NEXT) | instid1(VALU_DEP_1)
	v_minmax_f32 v8, v1, s13, 0xc3600000
	v_lshrrev_b32_e32 v3, 24, v8
	v_and_b32_e32 v1, 0x7f800000, v8
	s_delay_alu instid0(VALU_DEP_2) | instskip(NEXT) | instid1(VALU_DEP_2)
	v_or_b32_e32 v5, 0x7f, v3
	v_cmpx_ne_u64_e32 0x7f800000, v[1:2]
	s_xor_b32 s14, exec_lo, s0
	s_cbranch_execz .LBB17_52
; %bb.43:                               ;   in Loop: Header=BB17_32 Depth=1
	v_and_b32_e32 v1, 0x7fffffff, v8
	s_mov_b32 s0, exec_lo
	s_delay_alu instid0(VALU_DEP_1)
	v_cmpx_gt_u64_e32 0x43700001, v[1:2]
	s_xor_b32 s15, exec_lo, s0
	s_cbranch_execz .LBB17_51
; %bb.44:                               ;   in Loop: Header=BB17_32 Depth=1
	v_mov_b32_e32 v5, 0
	s_mov_b32 s16, exec_lo
	v_cmpx_ne_u32_e32 0, v8
	s_cbranch_execz .LBB17_50
; %bb.45:                               ;   in Loop: Header=BB17_32 Depth=1
	v_bfe_u32 v5, v8, 23, 8
	v_and_b32_e32 v7, 0x7fffff, v8
	s_delay_alu instid0(VALU_DEP_2) | instskip(SKIP_2) | instid1(VALU_DEP_3)
	v_sub_nc_u32_e64 v1, 0x78, v5 clamp
	v_cmp_eq_u32_e32 vcc_lo, 0, v5
	v_add_nc_u32_e32 v5, 0xffffff89, v5
	v_cndmask_b32_e64 v13, v1, 0x77, vcc_lo
	v_or_b32_e32 v1, 0x800000, v7
	s_delay_alu instid0(VALU_DEP_1) | instskip(SKIP_1) | instid1(VALU_DEP_2)
	v_dual_cndmask_b32 v1, v1, v7 :: v_dual_add_nc_u32 v8, 20, v13
	v_add_nc_u32_e32 v16, 19, v13
	v_lshlrev_b64 v[7:8], v8, -1
	s_delay_alu instid0(VALU_DEP_3) | instskip(NEXT) | instid1(VALU_DEP_3)
	v_lshrrev_b64 v[14:15], v13, v[1:2]
	v_lshlrev_b64 v[16:17], v16, 1
	v_mov_b32_e32 v8, v2
	s_delay_alu instid0(VALU_DEP_4) | instskip(NEXT) | instid1(VALU_DEP_1)
	v_not_b32_e32 v7, v7
	v_and_b32_e32 v7, v1, v7
	v_and_b32_e32 v1, 0x100000, v14
	s_delay_alu instid0(VALU_DEP_2) | instskip(NEXT) | instid1(VALU_DEP_2)
	v_cmp_eq_u64_e64 s0, v[7:8], v[16:17]
	v_cmp_eq_u64_e64 s1, 0, v[1:2]
	v_cndmask_b32_e64 v1, v5, 0xffffff8a, vcc_lo
	v_lshrrev_b32_e32 v5, 23, v14
	s_delay_alu instid0(VALU_DEP_3) | instskip(NEXT) | instid1(VALU_DEP_1)
	s_and_b32 vcc_lo, s1, s0
	v_add3_u32 v5, v1, v13, v5
	v_subrev_co_ci_u32_e32 v7, vcc_lo, 0, v14, vcc_lo
	s_mov_b32 s0, exec_lo
	s_delay_alu instid0(VALU_DEP_2) | instskip(NEXT) | instid1(VALU_DEP_2)
	v_add_nc_u32_e32 v13, -1, v5
	v_and_b32_e32 v1, 0xfffff, v7
	s_delay_alu instid0(VALU_DEP_1) | instskip(SKIP_1) | instid1(VALU_DEP_4)
	v_add_co_u32 v7, vcc_lo, v1, v14
	v_add_co_ci_u32_e32 v8, vcc_lo, 0, v15, vcc_lo
                                        ; implicit-def: $vgpr1
	v_cmpx_ne_u32_e32 0, v13
	s_xor_b32 s0, exec_lo, s0
; %bb.46:                               ;   in Loop: Header=BB17_32 Depth=1
	s_delay_alu instid0(VALU_DEP_3) | instskip(SKIP_1) | instid1(VALU_DEP_2)
	v_and_b32_e32 v1, 0x1000000, v7
	v_bfe_u32 v14, v7, 24, 1
	v_cmp_eq_u64_e32 vcc_lo, 0, v[1:2]
	s_delay_alu instid0(VALU_DEP_2)
	v_lshrrev_b64 v[7:8], v14, v[7:8]
	v_cndmask_b32_e32 v1, v5, v13, vcc_lo
; %bb.47:                               ;   in Loop: Header=BB17_32 Depth=1
	s_and_not1_saveexec_b32 s0, s0
; %bb.48:                               ;   in Loop: Header=BB17_32 Depth=1
	s_delay_alu instid0(VALU_DEP_2)
	v_bfe_u32 v1, v7, 23, 1
; %bb.49:                               ;   in Loop: Header=BB17_32 Depth=1
	s_or_b32 exec_lo, exec_lo, s0
	s_delay_alu instid0(VALU_DEP_3) | instskip(NEXT) | instid1(VALU_DEP_2)
	v_lshrrev_b64 v[7:8], 20, v[7:8]
	v_cmp_gt_i32_e32 vcc_lo, 16, v1
	v_and_b32_e32 v3, 0x80, v3
	v_min_i32_e32 v5, 15, v1
	v_cmp_eq_u32_e64 s0, 0, v1
	v_dual_cndmask_b32 v8, 0, v8 :: v_dual_cndmask_b32 v7, 7, v7
	s_delay_alu instid0(VALU_DEP_3) | instskip(NEXT) | instid1(VALU_DEP_2)
	v_lshl_or_b32 v3, v5, 3, v3
	v_cmp_eq_u64_e32 vcc_lo, 0, v[7:8]
	s_delay_alu instid0(VALU_DEP_2)
	v_and_or_b32 v1, v7, 7, v3
	s_and_b32 s0, s0, vcc_lo
	s_delay_alu instid0(VALU_DEP_1) | instid1(SALU_CYCLE_1)
	v_cndmask_b32_e64 v5, v1, 0, s0
.LBB17_50:                              ;   in Loop: Header=BB17_32 Depth=1
	s_or_b32 exec_lo, exec_lo, s16
.LBB17_51:                              ;   in Loop: Header=BB17_32 Depth=1
	s_and_not1_saveexec_b32 s0, s15
	s_delay_alu instid0(SALU_CYCLE_1)
	s_or_b32 exec_lo, exec_lo, s0
.LBB17_52:                              ;   in Loop: Header=BB17_32 Depth=1
	s_and_not1_saveexec_b32 s0, s14
	s_delay_alu instid0(SALU_CYCLE_1) | instskip(SKIP_3) | instid1(VALU_DEP_2)
	s_or_b32 exec_lo, exec_lo, s0
	v_fma_mixlo_f16 v1, v9, v4, 0 op_sel_hi:[0,1,0]
	v_add_nc_u32_e32 v13, 1, v10
	s_mov_b32 s0, exec_lo
	v_mul_f16_e32 v1, v6, v1
	global_store_b8 v13, v5, s[2:3]
	v_cvt_f32_f16_e32 v1, v1
	s_delay_alu instid0(VALU_DEP_1) | instskip(NEXT) | instid1(VALU_DEP_1)
	v_mul_f32_e32 v1, v11, v1
	v_minmax_f32 v8, v1, s13, 0xc3600000
	s_delay_alu instid0(VALU_DEP_1) | instskip(SKIP_1) | instid1(VALU_DEP_2)
	v_lshrrev_b32_e32 v3, 24, v8
	v_and_b32_e32 v1, 0x7f800000, v8
	v_or_b32_e32 v7, 0x7f, v3
	s_delay_alu instid0(VALU_DEP_2)
	v_cmpx_ne_u64_e32 0x7f800000, v[1:2]
	s_xor_b32 s14, exec_lo, s0
	s_cbranch_execz .LBB17_62
; %bb.53:                               ;   in Loop: Header=BB17_32 Depth=1
	v_and_b32_e32 v1, 0x7fffffff, v8
	s_mov_b32 s0, exec_lo
	s_delay_alu instid0(VALU_DEP_1)
	v_cmpx_gt_u64_e32 0x43700001, v[1:2]
	s_xor_b32 s15, exec_lo, s0
	s_cbranch_execz .LBB17_61
; %bb.54:                               ;   in Loop: Header=BB17_32 Depth=1
	v_mov_b32_e32 v7, 0
	s_mov_b32 s16, exec_lo
	v_cmpx_ne_u32_e32 0, v8
	s_cbranch_execz .LBB17_60
; %bb.55:                               ;   in Loop: Header=BB17_32 Depth=1
	v_bfe_u32 v5, v8, 23, 8
	v_and_b32_e32 v7, 0x7fffff, v8
	s_delay_alu instid0(VALU_DEP_2) | instskip(SKIP_2) | instid1(VALU_DEP_3)
	v_sub_nc_u32_e64 v1, 0x78, v5 clamp
	v_cmp_eq_u32_e32 vcc_lo, 0, v5
	v_add_nc_u32_e32 v5, 0xffffff89, v5
	v_cndmask_b32_e64 v13, v1, 0x77, vcc_lo
	v_or_b32_e32 v1, 0x800000, v7
	s_delay_alu instid0(VALU_DEP_1) | instskip(SKIP_1) | instid1(VALU_DEP_2)
	v_dual_cndmask_b32 v1, v1, v7 :: v_dual_add_nc_u32 v8, 20, v13
	v_add_nc_u32_e32 v16, 19, v13
	v_lshlrev_b64 v[7:8], v8, -1
	s_delay_alu instid0(VALU_DEP_3) | instskip(NEXT) | instid1(VALU_DEP_3)
	v_lshrrev_b64 v[14:15], v13, v[1:2]
	v_lshlrev_b64 v[16:17], v16, 1
	v_mov_b32_e32 v8, v2
	s_delay_alu instid0(VALU_DEP_4) | instskip(NEXT) | instid1(VALU_DEP_1)
	v_not_b32_e32 v7, v7
	v_and_b32_e32 v7, v1, v7
	v_and_b32_e32 v1, 0x100000, v14
	s_delay_alu instid0(VALU_DEP_2) | instskip(NEXT) | instid1(VALU_DEP_2)
	v_cmp_eq_u64_e64 s0, v[7:8], v[16:17]
	v_cmp_eq_u64_e64 s1, 0, v[1:2]
	v_cndmask_b32_e64 v1, v5, 0xffffff8a, vcc_lo
	v_lshrrev_b32_e32 v5, 23, v14
	s_delay_alu instid0(VALU_DEP_3) | instskip(NEXT) | instid1(VALU_DEP_1)
	s_and_b32 vcc_lo, s1, s0
	v_add3_u32 v5, v1, v13, v5
	v_subrev_co_ci_u32_e32 v7, vcc_lo, 0, v14, vcc_lo
	s_mov_b32 s0, exec_lo
	s_delay_alu instid0(VALU_DEP_2) | instskip(NEXT) | instid1(VALU_DEP_2)
	v_add_nc_u32_e32 v13, -1, v5
	v_and_b32_e32 v1, 0xfffff, v7
	s_delay_alu instid0(VALU_DEP_1) | instskip(SKIP_1) | instid1(VALU_DEP_4)
	v_add_co_u32 v7, vcc_lo, v1, v14
	v_add_co_ci_u32_e32 v8, vcc_lo, 0, v15, vcc_lo
                                        ; implicit-def: $vgpr1
	v_cmpx_ne_u32_e32 0, v13
	s_xor_b32 s0, exec_lo, s0
; %bb.56:                               ;   in Loop: Header=BB17_32 Depth=1
	s_delay_alu instid0(VALU_DEP_3) | instskip(SKIP_1) | instid1(VALU_DEP_2)
	v_and_b32_e32 v1, 0x1000000, v7
	v_bfe_u32 v14, v7, 24, 1
	v_cmp_eq_u64_e32 vcc_lo, 0, v[1:2]
	s_delay_alu instid0(VALU_DEP_2)
	v_lshrrev_b64 v[7:8], v14, v[7:8]
	v_cndmask_b32_e32 v1, v5, v13, vcc_lo
; %bb.57:                               ;   in Loop: Header=BB17_32 Depth=1
	s_and_not1_saveexec_b32 s0, s0
; %bb.58:                               ;   in Loop: Header=BB17_32 Depth=1
	s_delay_alu instid0(VALU_DEP_2)
	v_bfe_u32 v1, v7, 23, 1
; %bb.59:                               ;   in Loop: Header=BB17_32 Depth=1
	s_or_b32 exec_lo, exec_lo, s0
	s_delay_alu instid0(VALU_DEP_3) | instskip(NEXT) | instid1(VALU_DEP_2)
	v_lshrrev_b64 v[7:8], 20, v[7:8]
	v_cmp_gt_i32_e32 vcc_lo, 16, v1
	v_and_b32_e32 v3, 0x80, v3
	v_min_i32_e32 v5, 15, v1
	v_cmp_eq_u32_e64 s0, 0, v1
	v_dual_cndmask_b32 v8, 0, v8 :: v_dual_cndmask_b32 v7, 7, v7
	s_delay_alu instid0(VALU_DEP_3) | instskip(NEXT) | instid1(VALU_DEP_2)
	v_lshl_or_b32 v3, v5, 3, v3
	v_cmp_eq_u64_e32 vcc_lo, 0, v[7:8]
	s_delay_alu instid0(VALU_DEP_2)
	v_and_or_b32 v1, v7, 7, v3
	s_and_b32 s0, s0, vcc_lo
	s_delay_alu instid0(VALU_DEP_1) | instid1(SALU_CYCLE_1)
	v_cndmask_b32_e64 v7, v1, 0, s0
.LBB17_60:                              ;   in Loop: Header=BB17_32 Depth=1
	s_or_b32 exec_lo, exec_lo, s16
.LBB17_61:                              ;   in Loop: Header=BB17_32 Depth=1
	s_and_not1_saveexec_b32 s0, s15
	s_delay_alu instid0(SALU_CYCLE_1)
	s_or_b32 exec_lo, exec_lo, s0
.LBB17_62:                              ;   in Loop: Header=BB17_32 Depth=1
	s_and_not1_saveexec_b32 s0, s14
	s_delay_alu instid0(SALU_CYCLE_1) | instskip(SKIP_4) | instid1(VALU_DEP_2)
	s_or_b32 exec_lo, exec_lo, s0
	v_lshrrev_b32_e32 v1, 16, v6
	v_fma_mixlo_f16 v3, v9, v4, 0 op_sel:[0,1,0] op_sel_hi:[0,1,0]
	s_mov_b32 s0, exec_lo
	v_add_nc_u32_e32 v6, 2, v10
	v_mul_f16_e32 v1, v1, v3
	global_store_b8 v6, v7, s[2:3]
	v_cvt_f32_f16_e32 v1, v1
	s_delay_alu instid0(VALU_DEP_1) | instskip(NEXT) | instid1(VALU_DEP_1)
	v_mul_f32_e32 v1, v11, v1
	v_minmax_f32 v4, v1, s13, 0xc3600000
	s_delay_alu instid0(VALU_DEP_1) | instskip(SKIP_1) | instid1(VALU_DEP_2)
	v_lshrrev_b32_e32 v5, 24, v4
	v_and_b32_e32 v1, 0x7f800000, v4
	v_or_b32_e32 v3, 0x7f, v5
	s_delay_alu instid0(VALU_DEP_2)
	v_cmpx_ne_u64_e32 0x7f800000, v[1:2]
	s_xor_b32 s14, exec_lo, s0
	s_cbranch_execz .LBB17_31
; %bb.63:                               ;   in Loop: Header=BB17_32 Depth=1
	v_and_b32_e32 v1, 0x7fffffff, v4
	s_mov_b32 s0, exec_lo
	s_delay_alu instid0(VALU_DEP_1)
	v_cmpx_gt_u64_e32 0x43700001, v[1:2]
	s_xor_b32 s15, exec_lo, s0
	s_cbranch_execz .LBB17_30
; %bb.64:                               ;   in Loop: Header=BB17_32 Depth=1
	v_mov_b32_e32 v3, 0
	s_mov_b32 s16, exec_lo
	v_cmpx_ne_u32_e32 0, v4
	s_cbranch_execz .LBB17_29
; %bb.65:                               ;   in Loop: Header=BB17_32 Depth=1
	v_bfe_u32 v8, v4, 23, 8
	v_and_b32_e32 v3, 0x7fffff, v4
	s_delay_alu instid0(VALU_DEP_2) | instskip(SKIP_2) | instid1(VALU_DEP_3)
	v_sub_nc_u32_e64 v1, 0x78, v8 clamp
	v_cmp_eq_u32_e32 vcc_lo, 0, v8
	v_add_nc_u32_e32 v8, 0xffffff89, v8
	v_cndmask_b32_e64 v15, v1, 0x77, vcc_lo
	v_or_b32_e32 v1, 0x800000, v3
	s_delay_alu instid0(VALU_DEP_2) | instskip(NEXT) | instid1(VALU_DEP_2)
	v_add_nc_u32_e32 v4, 20, v15
	v_cndmask_b32_e32 v1, v1, v3, vcc_lo
	v_add_nc_u32_e32 v6, 19, v15
	s_delay_alu instid0(VALU_DEP_3) | instskip(NEXT) | instid1(VALU_DEP_3)
	v_lshlrev_b64 v[3:4], v4, -1
	v_lshrrev_b64 v[13:14], v15, v[1:2]
	s_delay_alu instid0(VALU_DEP_3) | instskip(SKIP_1) | instid1(VALU_DEP_4)
	v_lshlrev_b64 v[6:7], v6, 1
	v_mov_b32_e32 v4, v2
	v_not_b32_e32 v3, v3
	s_delay_alu instid0(VALU_DEP_1) | instskip(SKIP_1) | instid1(VALU_DEP_2)
	v_and_b32_e32 v3, v1, v3
	v_and_b32_e32 v1, 0x100000, v13
	v_cmp_eq_u64_e64 s0, v[3:4], v[6:7]
	s_delay_alu instid0(VALU_DEP_2) | instskip(SKIP_2) | instid1(VALU_DEP_3)
	v_cmp_eq_u64_e64 s1, 0, v[1:2]
	v_cndmask_b32_e64 v1, v8, 0xffffff8a, vcc_lo
	v_lshrrev_b32_e32 v3, 23, v13
	s_and_b32 vcc_lo, s1, s0
	s_delay_alu instid0(VALU_DEP_1) | instskip(SKIP_2) | instid1(VALU_DEP_2)
	v_add3_u32 v6, v1, v15, v3
	v_subrev_co_ci_u32_e32 v4, vcc_lo, 0, v13, vcc_lo
	s_mov_b32 s0, exec_lo
	v_add_nc_u32_e32 v7, -1, v6
	s_delay_alu instid0(VALU_DEP_2) | instskip(NEXT) | instid1(VALU_DEP_1)
	v_and_b32_e32 v1, 0xfffff, v4
	v_add_co_u32 v3, vcc_lo, v1, v13
	v_add_co_ci_u32_e32 v4, vcc_lo, 0, v14, vcc_lo
                                        ; implicit-def: $vgpr1
	s_delay_alu instid0(VALU_DEP_4)
	v_cmpx_ne_u32_e32 0, v7
	s_xor_b32 s0, exec_lo, s0
; %bb.66:                               ;   in Loop: Header=BB17_32 Depth=1
	s_delay_alu instid0(VALU_DEP_3) | instskip(SKIP_1) | instid1(VALU_DEP_2)
	v_and_b32_e32 v1, 0x1000000, v3
	v_bfe_u32 v8, v3, 24, 1
	v_cmp_eq_u64_e32 vcc_lo, 0, v[1:2]
	s_delay_alu instid0(VALU_DEP_2)
	v_lshrrev_b64 v[3:4], v8, v[3:4]
	v_cndmask_b32_e32 v1, v6, v7, vcc_lo
; %bb.67:                               ;   in Loop: Header=BB17_32 Depth=1
	s_and_not1_saveexec_b32 s0, s0
	s_cbranch_execz .LBB17_28
; %bb.68:                               ;   in Loop: Header=BB17_32 Depth=1
	s_delay_alu instid0(VALU_DEP_2)
	v_bfe_u32 v1, v3, 23, 1
	s_branch .LBB17_28
.LBB17_69:
	s_nop 0
	s_sendmsg sendmsg(MSG_DEALLOC_VGPRS)
	s_endpgm
	.section	.rodata,"a",@progbits
	.p2align	6, 0x0
	.amdhsa_kernel _ZN4vllm32rms_norm_static_fp8_quant_kernelIN3c104HalfENS1_15Float8_e4m3fnuzELi4EEEvPT0_PKT_iS8_PKffii
		.amdhsa_group_segment_fixed_size 132
		.amdhsa_private_segment_fixed_size 0
		.amdhsa_kernarg_size 312
		.amdhsa_user_sgpr_count 15
		.amdhsa_user_sgpr_dispatch_ptr 0
		.amdhsa_user_sgpr_queue_ptr 0
		.amdhsa_user_sgpr_kernarg_segment_ptr 1
		.amdhsa_user_sgpr_dispatch_id 0
		.amdhsa_user_sgpr_private_segment_size 0
		.amdhsa_wavefront_size32 1
		.amdhsa_uses_dynamic_stack 0
		.amdhsa_enable_private_segment 0
		.amdhsa_system_sgpr_workgroup_id_x 1
		.amdhsa_system_sgpr_workgroup_id_y 0
		.amdhsa_system_sgpr_workgroup_id_z 0
		.amdhsa_system_sgpr_workgroup_info 0
		.amdhsa_system_vgpr_workitem_id 0
		.amdhsa_next_free_vgpr 20
		.amdhsa_next_free_sgpr 20
		.amdhsa_reserve_vcc 1
		.amdhsa_float_round_mode_32 0
		.amdhsa_float_round_mode_16_64 0
		.amdhsa_float_denorm_mode_32 3
		.amdhsa_float_denorm_mode_16_64 3
		.amdhsa_dx10_clamp 1
		.amdhsa_ieee_mode 1
		.amdhsa_fp16_overflow 0
		.amdhsa_workgroup_processor_mode 1
		.amdhsa_memory_ordered 1
		.amdhsa_forward_progress 0
		.amdhsa_shared_vgpr_count 0
		.amdhsa_exception_fp_ieee_invalid_op 0
		.amdhsa_exception_fp_denorm_src 0
		.amdhsa_exception_fp_ieee_div_zero 0
		.amdhsa_exception_fp_ieee_overflow 0
		.amdhsa_exception_fp_ieee_underflow 0
		.amdhsa_exception_fp_ieee_inexact 0
		.amdhsa_exception_int_div_zero 0
	.end_amdhsa_kernel
	.section	.text._ZN4vllm32rms_norm_static_fp8_quant_kernelIN3c104HalfENS1_15Float8_e4m3fnuzELi4EEEvPT0_PKT_iS8_PKffii,"axG",@progbits,_ZN4vllm32rms_norm_static_fp8_quant_kernelIN3c104HalfENS1_15Float8_e4m3fnuzELi4EEEvPT0_PKT_iS8_PKffii,comdat
.Lfunc_end17:
	.size	_ZN4vllm32rms_norm_static_fp8_quant_kernelIN3c104HalfENS1_15Float8_e4m3fnuzELi4EEEvPT0_PKT_iS8_PKffii, .Lfunc_end17-_ZN4vllm32rms_norm_static_fp8_quant_kernelIN3c104HalfENS1_15Float8_e4m3fnuzELi4EEEvPT0_PKT_iS8_PKffii
                                        ; -- End function
	.section	.AMDGPU.csdata,"",@progbits
; Kernel info:
; codeLenInByte = 4168
; NumSgprs: 22
; NumVgprs: 20
; ScratchSize: 0
; MemoryBound: 0
; FloatMode: 240
; IeeeMode: 1
; LDSByteSize: 132 bytes/workgroup (compile time only)
; SGPRBlocks: 2
; VGPRBlocks: 2
; NumSGPRsForWavesPerEU: 22
; NumVGPRsForWavesPerEU: 20
; Occupancy: 16
; WaveLimiterHint : 0
; COMPUTE_PGM_RSRC2:SCRATCH_EN: 0
; COMPUTE_PGM_RSRC2:USER_SGPR: 15
; COMPUTE_PGM_RSRC2:TRAP_HANDLER: 0
; COMPUTE_PGM_RSRC2:TGID_X_EN: 1
; COMPUTE_PGM_RSRC2:TGID_Y_EN: 0
; COMPUTE_PGM_RSRC2:TGID_Z_EN: 0
; COMPUTE_PGM_RSRC2:TIDIG_COMP_CNT: 0
	.section	.text._ZN4vllm32rms_norm_static_fp8_quant_kernelIN3c104HalfENS1_15Float8_e4m3fnuzELi2EEEvPT0_PKT_iS8_PKffii,"axG",@progbits,_ZN4vllm32rms_norm_static_fp8_quant_kernelIN3c104HalfENS1_15Float8_e4m3fnuzELi2EEEvPT0_PKT_iS8_PKffii,comdat
	.protected	_ZN4vllm32rms_norm_static_fp8_quant_kernelIN3c104HalfENS1_15Float8_e4m3fnuzELi2EEEvPT0_PKT_iS8_PKffii ; -- Begin function _ZN4vllm32rms_norm_static_fp8_quant_kernelIN3c104HalfENS1_15Float8_e4m3fnuzELi2EEEvPT0_PKT_iS8_PKffii
	.globl	_ZN4vllm32rms_norm_static_fp8_quant_kernelIN3c104HalfENS1_15Float8_e4m3fnuzELi2EEEvPT0_PKT_iS8_PKffii
	.p2align	8
	.type	_ZN4vllm32rms_norm_static_fp8_quant_kernelIN3c104HalfENS1_15Float8_e4m3fnuzELi2EEEvPT0_PKT_iS8_PKffii,@function
_ZN4vllm32rms_norm_static_fp8_quant_kernelIN3c104HalfENS1_15Float8_e4m3fnuzELi2EEEvPT0_PKT_iS8_PKffii: ; @_ZN4vllm32rms_norm_static_fp8_quant_kernelIN3c104HalfENS1_15Float8_e4m3fnuzELi2EEEvPT0_PKT_iS8_PKffii
; %bb.0:
	s_clause 0x3
	s_load_b32 s2, s[0:1], 0x10
	s_load_b64 s[4:5], s[0:1], 0x8
	s_load_b32 s10, s[0:1], 0x44
	s_load_b32 s13, s[0:1], 0x30
	s_mov_b32 s3, 0
	s_waitcnt lgkmcnt(0)
	s_mul_i32 s2, s15, s2
	s_delay_alu instid0(SALU_CYCLE_1) | instskip(NEXT) | instid1(SALU_CYCLE_1)
	s_lshl_b64 s[6:7], s[2:3], 1
	s_add_u32 s8, s4, s6
	s_addc_u32 s9, s5, s7
	s_and_b32 s2, s8, 3
	s_and_b32 s12, s10, 0xffff
	s_cmp_lg_u64 s[2:3], 0
	s_cselect_b32 s2, -1, 0
	s_bitcmp1_b32 s13, 0
	s_cselect_b32 s3, -1, 0
	s_delay_alu instid0(SALU_CYCLE_1) | instskip(NEXT) | instid1(SALU_CYCLE_1)
	s_or_b32 s2, s2, s3
	s_and_b32 vcc_lo, exec_lo, s2
	s_cbranch_vccz .LBB18_13
; %bb.1:
	s_sub_i32 s2, 0, s8
	v_mov_b32_e32 v4, 0
	s_bfe_u32 s2, s2, 0x10001
	s_mov_b32 s11, exec_lo
	s_min_i32 s10, s2, s13
	s_delay_alu instid0(SALU_CYCLE_1)
	v_cmpx_gt_i32_e64 s10, v0
	s_cbranch_execz .LBB18_4
; %bb.2:
	v_dual_mov_b32 v1, 0 :: v_dual_mov_b32 v4, 0
	s_lshl_b32 s14, s12, 1
	s_mov_b32 s16, 0
	s_mov_b64 s[2:3], s[8:9]
.LBB18_3:                               ; =>This Inner Loop Header: Depth=1
	global_load_u16 v2, v1, s[2:3]
	s_add_i32 s16, s16, s12
	s_add_u32 s2, s2, s14
	s_addc_u32 s3, s3, 0
	s_cmp_ge_i32 s16, s10
	s_waitcnt vmcnt(0)
	v_fma_mix_f32 v4, v2, v2, v4 op_sel_hi:[1,1,0]
	s_cbranch_scc0 .LBB18_3
.LBB18_4:
	s_or_b32 exec_lo, exec_lo, s11
	s_sub_i32 s3, s13, s10
	s_ashr_i32 s11, s10, 31
	s_lshr_b32 s2, s3, 31
	s_mov_b32 s16, exec_lo
	s_add_i32 s2, s3, s2
	s_delay_alu instid0(SALU_CYCLE_1) | instskip(NEXT) | instid1(SALU_CYCLE_1)
	s_ashr_i32 s14, s2, 1
	v_cmpx_gt_i32_e64 s14, v0
	s_cbranch_execz .LBB18_8
; %bb.5:
	v_lshlrev_b32_e32 v1, 2, v0
	s_lshl_b64 s[18:19], s[10:11], 1
	s_add_u32 s2, s4, s6
	s_addc_u32 s17, s5, s7
	s_add_u32 s2, s2, s18
	s_addc_u32 s17, s17, s19
	v_add_co_u32 v1, s2, s2, v1
	s_delay_alu instid0(VALU_DEP_1) | instskip(SKIP_1) | instid1(VALU_DEP_3)
	v_add_co_ci_u32_e64 v2, null, s17, 0, s2
	v_mov_b32_e32 v3, v0
	v_add_co_u32 v1, vcc_lo, v1, 2
	s_delay_alu instid0(VALU_DEP_3)
	v_add_co_ci_u32_e32 v2, vcc_lo, 0, v2, vcc_lo
	s_mov_b32 s17, 0
	s_lshl_b32 s18, s12, 2
.LBB18_6:                               ; =>This Inner Loop Header: Depth=1
	global_load_b32 v5, v[1:2], off offset:-2
	v_add_nc_u32_e32 v3, s12, v3
	v_add_co_u32 v1, vcc_lo, v1, s18
	v_add_co_ci_u32_e32 v2, vcc_lo, 0, v2, vcc_lo
	s_delay_alu instid0(VALU_DEP_3) | instskip(NEXT) | instid1(VALU_DEP_1)
	v_cmp_le_i32_e64 s2, s14, v3
	s_or_b32 s17, s2, s17
	s_waitcnt vmcnt(0)
	v_fma_mix_f32 v4, v5, v5, v4 op_sel_hi:[1,1,0]
	s_delay_alu instid0(VALU_DEP_1)
	v_fma_mix_f32 v4, v5, v5, v4 op_sel:[1,1,0] op_sel_hi:[1,1,0]
	s_and_not1_b32 exec_lo, exec_lo, s17
	s_cbranch_execnz .LBB18_6
; %bb.7:
	s_or_b32 exec_lo, exec_lo, s17
.LBB18_8:
	s_delay_alu instid0(SALU_CYCLE_1) | instskip(SKIP_2) | instid1(VALU_DEP_1)
	s_or_b32 exec_lo, exec_lo, s16
	v_lshl_add_u32 v1, s14, 1, v0
	s_mov_b32 s14, exec_lo
	v_cmpx_gt_i32_e64 s3, v1
	s_cbranch_execz .LBB18_12
; %bb.9:
	v_ashrrev_i32_e32 v2, 31, v1
	s_lshl_b64 s[10:11], s[10:11], 1
	s_add_u32 s2, s4, s6
	s_addc_u32 s16, s5, s7
	s_add_u32 s2, s2, s10
	v_lshlrev_b64 v[2:3], 1, v[1:2]
	s_addc_u32 s10, s16, s11
	s_lshl_b32 s11, s12, 1
	s_delay_alu instid0(VALU_DEP_1) | instskip(NEXT) | instid1(VALU_DEP_2)
	v_add_co_u32 v2, vcc_lo, s2, v2
	v_add_co_ci_u32_e32 v3, vcc_lo, s10, v3, vcc_lo
	s_mov_b32 s10, 0
.LBB18_10:                              ; =>This Inner Loop Header: Depth=1
	global_load_u16 v5, v[2:3], off
	v_add_nc_u32_e32 v1, s12, v1
	v_add_co_u32 v2, vcc_lo, v2, s11
	v_add_co_ci_u32_e32 v3, vcc_lo, 0, v3, vcc_lo
	s_delay_alu instid0(VALU_DEP_3) | instskip(NEXT) | instid1(VALU_DEP_1)
	v_cmp_le_i32_e64 s2, s3, v1
	s_or_b32 s10, s2, s10
	s_waitcnt vmcnt(0)
	v_fma_mix_f32 v4, v5, v5, v4 op_sel_hi:[1,1,0]
	s_and_not1_b32 exec_lo, exec_lo, s10
	s_cbranch_execnz .LBB18_10
; %bb.11:
	s_or_b32 exec_lo, exec_lo, s10
.LBB18_12:
	s_delay_alu instid0(SALU_CYCLE_1)
	s_or_b32 exec_lo, exec_lo, s14
	s_branch .LBB18_19
.LBB18_13:
                                        ; implicit-def: $vgpr4
	s_cbranch_execz .LBB18_19
; %bb.14:
	v_mov_b32_e32 v4, 0
	s_ashr_i32 s10, s13, 1
	s_mov_b32 s3, exec_lo
	v_cmpx_gt_i32_e64 s10, v0
	s_cbranch_execz .LBB18_18
; %bb.15:
	v_dual_mov_b32 v4, 0 :: v_dual_lshlrev_b32 v1, 2, v0
	s_add_u32 s2, s4, s6
	s_addc_u32 s4, s5, s7
	v_mov_b32_e32 v3, v0
	s_delay_alu instid0(VALU_DEP_2) | instskip(NEXT) | instid1(VALU_DEP_1)
	v_add_co_u32 v1, s2, s2, v1
	v_add_co_ci_u32_e64 v2, null, s4, 0, s2
	s_mov_b32 s4, 0
	s_delay_alu instid0(VALU_DEP_2) | instskip(NEXT) | instid1(VALU_DEP_2)
	v_add_co_u32 v1, vcc_lo, v1, 2
	v_add_co_ci_u32_e32 v2, vcc_lo, 0, v2, vcc_lo
	s_lshl_b32 s5, s12, 2
.LBB18_16:                              ; =>This Inner Loop Header: Depth=1
	global_load_b32 v5, v[1:2], off offset:-2
	v_add_nc_u32_e32 v3, s12, v3
	v_add_co_u32 v1, vcc_lo, v1, s5
	v_add_co_ci_u32_e32 v2, vcc_lo, 0, v2, vcc_lo
	s_delay_alu instid0(VALU_DEP_3) | instskip(NEXT) | instid1(VALU_DEP_1)
	v_cmp_le_i32_e64 s2, s10, v3
	s_or_b32 s4, s2, s4
	s_waitcnt vmcnt(0)
	v_fma_mix_f32 v4, v5, v5, v4 op_sel_hi:[1,1,0]
	s_delay_alu instid0(VALU_DEP_1)
	v_fma_mix_f32 v4, v5, v5, v4 op_sel:[1,1,0] op_sel_hi:[1,1,0]
	s_and_not1_b32 exec_lo, exec_lo, s4
	s_cbranch_execnz .LBB18_16
; %bb.17:
	s_or_b32 exec_lo, exec_lo, s4
.LBB18_18:
	s_delay_alu instid0(SALU_CYCLE_1)
	s_or_b32 exec_lo, exec_lo, s3
.LBB18_19:
	v_mbcnt_lo_u32_b32 v1, -1, 0
	v_and_b32_e32 v3, 0x3e0, v0
	s_mov_b32 s2, exec_lo
	s_delay_alu instid0(VALU_DEP_2) | instskip(NEXT) | instid1(VALU_DEP_2)
	v_cmp_ne_u32_e32 vcc_lo, 31, v1
	v_sub_nc_u32_e64 v12, s12, v3 clamp
	v_add_nc_u32_e32 v3, 1, v1
	v_add_co_ci_u32_e32 v2, vcc_lo, 0, v1, vcc_lo
	v_cmp_gt_u32_e32 vcc_lo, 30, v1
	s_delay_alu instid0(VALU_DEP_2)
	v_lshlrev_b32_e32 v2, 2, v2
	v_cndmask_b32_e64 v6, 0, 1, vcc_lo
	v_cmp_lt_u32_e32 vcc_lo, v3, v12
	ds_bpermute_b32 v5, v2, v4
	s_waitcnt lgkmcnt(0)
	v_dual_add_f32 v7, v4, v5 :: v_dual_lshlrev_b32 v6, 1, v6
	s_delay_alu instid0(VALU_DEP_1) | instskip(NEXT) | instid1(VALU_DEP_2)
	v_cndmask_b32_e32 v7, v4, v7, vcc_lo
	v_add_lshl_u32 v5, v6, v1, 2
	v_cmp_gt_u32_e32 vcc_lo, 28, v1
	ds_bpermute_b32 v6, v5, v7
	v_cndmask_b32_e64 v4, 0, 1, vcc_lo
	s_delay_alu instid0(VALU_DEP_1) | instskip(SKIP_1) | instid1(VALU_DEP_1)
	v_lshlrev_b32_e32 v8, 2, v4
	v_add_nc_u32_e32 v4, 2, v1
	v_cmp_lt_u32_e32 vcc_lo, v4, v12
	s_waitcnt lgkmcnt(0)
	v_add_f32_e32 v9, v7, v6
	v_add_lshl_u32 v6, v8, v1, 2
	s_delay_alu instid0(VALU_DEP_2) | instskip(SKIP_2) | instid1(VALU_DEP_1)
	v_cndmask_b32_e32 v9, v7, v9, vcc_lo
	v_cmp_gt_u32_e32 vcc_lo, 24, v1
	v_cndmask_b32_e64 v7, 0, 1, vcc_lo
	v_lshlrev_b32_e32 v10, 3, v7
	ds_bpermute_b32 v8, v6, v9
	v_add_nc_u32_e32 v7, 4, v1
	s_delay_alu instid0(VALU_DEP_1) | instskip(SKIP_3) | instid1(VALU_DEP_2)
	v_cmp_lt_u32_e32 vcc_lo, v7, v12
	s_waitcnt lgkmcnt(0)
	v_add_f32_e32 v11, v9, v8
	v_add_lshl_u32 v8, v10, v1, 2
	v_cndmask_b32_e32 v11, v9, v11, vcc_lo
	v_cmp_gt_u32_e32 vcc_lo, 16, v1
	ds_bpermute_b32 v10, v8, v11
	v_cndmask_b32_e64 v9, 0, 1, vcc_lo
	s_delay_alu instid0(VALU_DEP_1) | instskip(SKIP_1) | instid1(VALU_DEP_1)
	v_lshlrev_b32_e32 v13, 4, v9
	v_add_nc_u32_e32 v9, 8, v1
	v_cmp_lt_u32_e32 vcc_lo, v9, v12
	s_waitcnt lgkmcnt(0)
	v_add_f32_e32 v14, v11, v10
	v_add_lshl_u32 v10, v13, v1, 2
	s_delay_alu instid0(VALU_DEP_2)
	v_cndmask_b32_e32 v13, v11, v14, vcc_lo
	v_add_nc_u32_e32 v11, 16, v1
	ds_bpermute_b32 v14, v10, v13
	v_cmp_lt_u32_e32 vcc_lo, v11, v12
	s_waitcnt lgkmcnt(0)
	v_add_f32_e32 v14, v13, v14
	s_delay_alu instid0(VALU_DEP_1)
	v_cndmask_b32_e32 v12, v13, v14, vcc_lo
	v_cmpx_eq_u32_e32 0, v1
	s_cbranch_execz .LBB18_21
; %bb.20:
	v_lshrrev_b32_e32 v13, 3, v0
	s_delay_alu instid0(VALU_DEP_1)
	v_and_b32_e32 v13, 0x7c, v13
	ds_store_b32 v13, v12
.LBB18_21:
	s_or_b32 exec_lo, exec_lo, s2
	s_delay_alu instid0(SALU_CYCLE_1)
	s_mov_b32 s2, exec_lo
	s_waitcnt lgkmcnt(0)
	s_barrier
	buffer_gl0_inv
	v_cmpx_gt_u32_e32 32, v0
	s_cbranch_execz .LBB18_23
; %bb.22:
	v_lshlrev_b32_e32 v1, 2, v1
	s_add_i32 s3, s12, 31
	s_delay_alu instid0(SALU_CYCLE_1) | instskip(NEXT) | instid1(SALU_CYCLE_1)
	s_lshr_b32 s3, s3, 5
	v_cmp_gt_u32_e32 vcc_lo, s3, v3
	ds_load_b32 v1, v1
	s_waitcnt lgkmcnt(0)
	ds_bpermute_b32 v2, v2, v1
	s_waitcnt lgkmcnt(0)
	v_add_f32_e32 v2, v1, v2
	s_delay_alu instid0(VALU_DEP_1) | instskip(SKIP_4) | instid1(VALU_DEP_1)
	v_cndmask_b32_e32 v1, v1, v2, vcc_lo
	v_cmp_gt_u32_e32 vcc_lo, s3, v4
	ds_bpermute_b32 v2, v5, v1
	s_waitcnt lgkmcnt(0)
	v_add_f32_e32 v2, v1, v2
	v_cndmask_b32_e32 v1, v1, v2, vcc_lo
	v_cmp_gt_u32_e32 vcc_lo, s3, v7
	ds_bpermute_b32 v2, v6, v1
	s_waitcnt lgkmcnt(0)
	v_add_f32_e32 v2, v1, v2
	s_delay_alu instid0(VALU_DEP_1) | instskip(SKIP_4) | instid1(VALU_DEP_1)
	v_cndmask_b32_e32 v1, v1, v2, vcc_lo
	v_cmp_gt_u32_e32 vcc_lo, s3, v9
	ds_bpermute_b32 v2, v8, v1
	s_waitcnt lgkmcnt(0)
	v_add_f32_e32 v2, v1, v2
	v_cndmask_b32_e32 v1, v1, v2, vcc_lo
	v_cmp_gt_u32_e32 vcc_lo, s3, v11
	ds_bpermute_b32 v2, v10, v1
	s_waitcnt lgkmcnt(0)
	v_add_f32_e32 v2, v1, v2
	s_delay_alu instid0(VALU_DEP_1)
	v_cndmask_b32_e32 v12, v1, v2, vcc_lo
.LBB18_23:
	s_or_b32 exec_lo, exec_lo, s2
	s_delay_alu instid0(SALU_CYCLE_1)
	s_mov_b32 s2, exec_lo
	v_cmpx_eq_u32_e32 0, v0
	s_cbranch_execz .LBB18_25
; %bb.24:
	v_cvt_f32_i32_e32 v1, s13
	s_load_b32 s3, s[0:1], 0x28
	s_delay_alu instid0(VALU_DEP_1) | instskip(SKIP_1) | instid1(VALU_DEP_2)
	v_div_scale_f32 v2, null, v1, v1, v12
	v_div_scale_f32 v5, vcc_lo, v12, v1, v12
	v_rcp_f32_e32 v3, v2
	s_waitcnt_depctr 0xfff
	v_fma_f32 v4, -v2, v3, 1.0
	s_delay_alu instid0(VALU_DEP_1) | instskip(NEXT) | instid1(VALU_DEP_1)
	v_fmac_f32_e32 v3, v4, v3
	v_mul_f32_e32 v4, v5, v3
	s_delay_alu instid0(VALU_DEP_1) | instskip(NEXT) | instid1(VALU_DEP_1)
	v_fma_f32 v6, -v2, v4, v5
	v_fmac_f32_e32 v4, v6, v3
	s_delay_alu instid0(VALU_DEP_1) | instskip(NEXT) | instid1(VALU_DEP_1)
	v_fma_f32 v2, -v2, v4, v5
	v_div_fmas_f32 v2, v2, v3, v4
	s_delay_alu instid0(VALU_DEP_1) | instskip(SKIP_1) | instid1(VALU_DEP_1)
	v_div_fixup_f32 v1, v2, v1, v12
	s_waitcnt lgkmcnt(0)
	v_add_f32_e32 v1, s3, v1
	s_delay_alu instid0(VALU_DEP_1) | instskip(SKIP_1) | instid1(VALU_DEP_2)
	v_mul_f32_e32 v2, 0x4b800000, v1
	v_cmp_gt_f32_e32 vcc_lo, 0x800000, v1
	v_cndmask_b32_e32 v1, v1, v2, vcc_lo
	s_delay_alu instid0(VALU_DEP_1) | instskip(SKIP_2) | instid1(VALU_DEP_1)
	v_rsq_f32_e32 v1, v1
	s_waitcnt_depctr 0xfff
	v_mul_f32_e32 v2, 0x45800000, v1
	v_dual_cndmask_b32 v1, v1, v2 :: v_dual_mov_b32 v2, 0
	ds_store_b32 v2, v1 offset:128
.LBB18_25:
	s_or_b32 exec_lo, exec_lo, s2
	s_lshr_b32 s2, s13, 31
	s_waitcnt lgkmcnt(0)
	s_add_i32 s2, s13, s2
	s_barrier
	s_ashr_i32 s10, s2, 1
	buffer_gl0_inv
	s_mov_b32 s2, exec_lo
	v_cmpx_gt_i32_e64 s10, v0
	s_cbranch_execz .LBB18_48
; %bb.26:
	s_clause 0x1
	s_load_b128 s[4:7], s[0:1], 0x18
	s_load_b64 s[2:3], s[0:1], 0x0
	s_mul_i32 s15, s15, s13
	s_lshl_b32 s11, s12, 2
	v_lshl_add_u32 v8, v0, 1, s15
	s_mov_b32 s13, 0x43600000
	s_waitcnt lgkmcnt(0)
	s_load_b32 s7, s[6:7], 0x0
	s_lshl_b32 s6, s12, 1
	s_waitcnt lgkmcnt(0)
	v_div_scale_f32 v1, null, s7, s7, 1.0
	v_div_scale_f32 v4, vcc_lo, 1.0, s7, 1.0
	s_delay_alu instid0(VALU_DEP_2) | instskip(SKIP_2) | instid1(VALU_DEP_1)
	v_rcp_f32_e32 v3, v1
	s_waitcnt_depctr 0xfff
	v_fma_f32 v2, -v1, v3, 1.0
	v_dual_fmac_f32 v3, v2, v3 :: v_dual_mov_b32 v2, 0
	s_delay_alu instid0(VALU_DEP_1) | instskip(SKIP_2) | instid1(VALU_DEP_1)
	v_mul_f32_e32 v5, v4, v3
	ds_load_b32 v7, v2 offset:128
	v_fma_f32 v6, -v1, v5, v4
	v_fmac_f32_e32 v5, v6, v3
	s_delay_alu instid0(VALU_DEP_1) | instskip(NEXT) | instid1(VALU_DEP_1)
	v_fma_f32 v1, -v1, v5, v4
	v_div_fmas_f32 v3, v1, v3, v5
	v_lshl_or_b32 v1, v0, 2, 2
	s_delay_alu instid0(VALU_DEP_2) | instskip(NEXT) | instid1(VALU_DEP_2)
	v_div_fixup_f32 v9, v3, s7, 1.0
	v_dual_mov_b32 v4, v2 :: v_dual_mov_b32 v3, v1
	s_mov_b32 s7, 0
	s_branch .LBB18_31
.LBB18_27:                              ;   in Loop: Header=BB18_31 Depth=1
	s_or_b32 exec_lo, exec_lo, s0
	s_delay_alu instid0(VALU_DEP_2) | instskip(NEXT) | instid1(VALU_DEP_2)
	v_lshrrev_b64 v[5:6], 20, v[5:6]
	v_cmp_gt_i32_e32 vcc_lo, 16, v1
	v_and_b32_e32 v10, 0x80, v10
	v_min_i32_e32 v11, 15, v1
	v_cmp_eq_u32_e64 s0, 0, v1
	v_dual_cndmask_b32 v5, 7, v5 :: v_dual_cndmask_b32 v6, 0, v6
	s_delay_alu instid0(VALU_DEP_3) | instskip(NEXT) | instid1(VALU_DEP_2)
	v_lshl_or_b32 v10, v11, 3, v10
	v_cmp_eq_u64_e32 vcc_lo, 0, v[5:6]
	s_delay_alu instid0(VALU_DEP_2)
	v_and_or_b32 v1, v5, 7, v10
	s_and_b32 s0, s0, vcc_lo
	s_delay_alu instid0(VALU_DEP_1) | instid1(SALU_CYCLE_1)
	v_cndmask_b32_e64 v6, v1, 0, s0
.LBB18_28:                              ;   in Loop: Header=BB18_31 Depth=1
	s_or_b32 exec_lo, exec_lo, s16
.LBB18_29:                              ;   in Loop: Header=BB18_31 Depth=1
	s_and_not1_saveexec_b32 s0, s15
	s_delay_alu instid0(SALU_CYCLE_1)
	s_or_b32 exec_lo, exec_lo, s0
.LBB18_30:                              ;   in Loop: Header=BB18_31 Depth=1
	s_and_not1_saveexec_b32 s0, s14
	s_delay_alu instid0(SALU_CYCLE_1) | instskip(SKIP_4) | instid1(VALU_DEP_4)
	s_or_b32 exec_lo, exec_lo, s0
	v_add_nc_u32_e32 v0, s12, v0
	v_add_co_u32 v3, s0, v3, s11
	v_add_nc_u32_e32 v1, 1, v8
	v_add_nc_u32_e32 v8, s6, v8
	v_cmp_le_i32_e32 vcc_lo, s10, v0
	v_add_co_ci_u32_e64 v4, s0, 0, v4, s0
	global_store_b8 v1, v6, s[2:3]
	s_or_b32 s7, vcc_lo, s7
	s_delay_alu instid0(SALU_CYCLE_1)
	s_and_not1_b32 exec_lo, exec_lo, s7
	s_cbranch_execz .LBB18_48
.LBB18_31:                              ; =>This Inner Loop Header: Depth=1
	s_delay_alu instid0(VALU_DEP_1) | instskip(NEXT) | instid1(VALU_DEP_2)
	v_add_co_u32 v5, vcc_lo, s8, v3
	v_add_co_ci_u32_e32 v6, vcc_lo, s9, v4, vcc_lo
	s_mov_b32 s0, exec_lo
	global_load_b32 v10, v[5:6], off offset:-2
	v_add_co_u32 v5, vcc_lo, s4, v3
	v_add_co_ci_u32_e32 v6, vcc_lo, s5, v4, vcc_lo
	global_load_b32 v11, v[5:6], off offset:-2
	s_waitcnt vmcnt(1) lgkmcnt(0)
	v_fma_mixlo_f16 v1, v7, v10, 0 op_sel_hi:[0,1,0]
	s_waitcnt vmcnt(0)
	s_delay_alu instid0(VALU_DEP_1) | instskip(NEXT) | instid1(VALU_DEP_1)
	v_mul_f16_e32 v1, v11, v1
	v_cvt_f32_f16_e32 v1, v1
	s_delay_alu instid0(VALU_DEP_1) | instskip(NEXT) | instid1(VALU_DEP_1)
	v_mul_f32_e32 v1, v9, v1
	v_minmax_f32 v6, v1, s13, 0xc3600000
	s_delay_alu instid0(VALU_DEP_1) | instskip(SKIP_1) | instid1(VALU_DEP_2)
	v_lshrrev_b32_e32 v12, 24, v6
	v_and_b32_e32 v1, 0x7f800000, v6
	v_or_b32_e32 v5, 0x7f, v12
	s_delay_alu instid0(VALU_DEP_2)
	v_cmpx_ne_u64_e32 0x7f800000, v[1:2]
	s_xor_b32 s14, exec_lo, s0
	s_cbranch_execz .LBB18_41
; %bb.32:                               ;   in Loop: Header=BB18_31 Depth=1
	v_and_b32_e32 v1, 0x7fffffff, v6
	s_mov_b32 s0, exec_lo
	s_delay_alu instid0(VALU_DEP_1)
	v_cmpx_gt_u64_e32 0x43700001, v[1:2]
	s_xor_b32 s15, exec_lo, s0
	s_cbranch_execz .LBB18_40
; %bb.33:                               ;   in Loop: Header=BB18_31 Depth=1
	v_mov_b32_e32 v5, 0
	s_mov_b32 s16, exec_lo
	v_cmpx_ne_u32_e32 0, v6
	s_cbranch_execz .LBB18_39
; %bb.34:                               ;   in Loop: Header=BB18_31 Depth=1
	v_bfe_u32 v17, v6, 23, 8
	v_and_b32_e32 v5, 0x7fffff, v6
	s_delay_alu instid0(VALU_DEP_2) | instskip(SKIP_2) | instid1(VALU_DEP_3)
	v_sub_nc_u32_e64 v1, 0x78, v17 clamp
	v_cmp_eq_u32_e32 vcc_lo, 0, v17
	v_add_nc_u32_e32 v17, 0xffffff89, v17
	v_cndmask_b32_e64 v18, v1, 0x77, vcc_lo
	v_or_b32_e32 v1, 0x800000, v5
	s_delay_alu instid0(VALU_DEP_1) | instskip(SKIP_1) | instid1(VALU_DEP_2)
	v_dual_cndmask_b32 v1, v1, v5 :: v_dual_add_nc_u32 v6, 20, v18
	v_add_nc_u32_e32 v13, 19, v18
	v_lshlrev_b64 v[5:6], v6, -1
	s_delay_alu instid0(VALU_DEP_3) | instskip(NEXT) | instid1(VALU_DEP_3)
	v_lshrrev_b64 v[15:16], v18, v[1:2]
	v_lshlrev_b64 v[13:14], v13, 1
	v_mov_b32_e32 v6, v2
	s_delay_alu instid0(VALU_DEP_4) | instskip(NEXT) | instid1(VALU_DEP_1)
	v_not_b32_e32 v5, v5
	v_and_b32_e32 v5, v1, v5
	v_and_b32_e32 v1, 0x100000, v15
	s_delay_alu instid0(VALU_DEP_2) | instskip(NEXT) | instid1(VALU_DEP_2)
	v_cmp_eq_u64_e64 s0, v[5:6], v[13:14]
	v_cmp_eq_u64_e64 s1, 0, v[1:2]
	v_cndmask_b32_e64 v1, v17, 0xffffff8a, vcc_lo
	v_lshrrev_b32_e32 v5, 23, v15
	s_delay_alu instid0(VALU_DEP_3) | instskip(NEXT) | instid1(VALU_DEP_1)
	s_and_b32 vcc_lo, s1, s0
	v_add3_u32 v13, v1, v18, v5
	v_subrev_co_ci_u32_e32 v6, vcc_lo, 0, v15, vcc_lo
	s_mov_b32 s0, exec_lo
	s_delay_alu instid0(VALU_DEP_2) | instskip(NEXT) | instid1(VALU_DEP_2)
	v_add_nc_u32_e32 v14, -1, v13
	v_and_b32_e32 v1, 0xfffff, v6
	s_delay_alu instid0(VALU_DEP_1) | instskip(SKIP_1) | instid1(VALU_DEP_4)
	v_add_co_u32 v5, vcc_lo, v1, v15
	v_add_co_ci_u32_e32 v6, vcc_lo, 0, v16, vcc_lo
                                        ; implicit-def: $vgpr1
	v_cmpx_ne_u32_e32 0, v14
	s_xor_b32 s0, exec_lo, s0
; %bb.35:                               ;   in Loop: Header=BB18_31 Depth=1
	s_delay_alu instid0(VALU_DEP_3) | instskip(SKIP_1) | instid1(VALU_DEP_2)
	v_and_b32_e32 v1, 0x1000000, v5
	v_bfe_u32 v15, v5, 24, 1
	v_cmp_eq_u64_e32 vcc_lo, 0, v[1:2]
	s_delay_alu instid0(VALU_DEP_2)
	v_lshrrev_b64 v[5:6], v15, v[5:6]
	v_cndmask_b32_e32 v1, v13, v14, vcc_lo
; %bb.36:                               ;   in Loop: Header=BB18_31 Depth=1
	s_and_not1_saveexec_b32 s0, s0
; %bb.37:                               ;   in Loop: Header=BB18_31 Depth=1
	s_delay_alu instid0(VALU_DEP_2)
	v_bfe_u32 v1, v5, 23, 1
; %bb.38:                               ;   in Loop: Header=BB18_31 Depth=1
	s_or_b32 exec_lo, exec_lo, s0
	s_delay_alu instid0(VALU_DEP_3) | instskip(NEXT) | instid1(VALU_DEP_2)
	v_lshrrev_b64 v[5:6], 20, v[5:6]
	v_cmp_gt_i32_e32 vcc_lo, 16, v1
	v_and_b32_e32 v12, 0x80, v12
	v_min_i32_e32 v13, 15, v1
	v_cmp_eq_u32_e64 s0, 0, v1
	v_dual_cndmask_b32 v5, 7, v5 :: v_dual_cndmask_b32 v6, 0, v6
	s_delay_alu instid0(VALU_DEP_3) | instskip(NEXT) | instid1(VALU_DEP_2)
	v_lshl_or_b32 v12, v13, 3, v12
	v_cmp_eq_u64_e32 vcc_lo, 0, v[5:6]
	s_delay_alu instid0(VALU_DEP_2)
	v_and_or_b32 v1, v5, 7, v12
	s_and_b32 s0, s0, vcc_lo
	s_delay_alu instid0(VALU_DEP_1) | instid1(SALU_CYCLE_1)
	v_cndmask_b32_e64 v5, v1, 0, s0
.LBB18_39:                              ;   in Loop: Header=BB18_31 Depth=1
	s_or_b32 exec_lo, exec_lo, s16
.LBB18_40:                              ;   in Loop: Header=BB18_31 Depth=1
	s_and_not1_saveexec_b32 s0, s15
	s_delay_alu instid0(SALU_CYCLE_1)
	s_or_b32 exec_lo, exec_lo, s0
.LBB18_41:                              ;   in Loop: Header=BB18_31 Depth=1
	s_and_not1_saveexec_b32 s0, s14
	s_delay_alu instid0(SALU_CYCLE_1)
	s_or_b32 exec_lo, exec_lo, s0
	v_lshrrev_b32_e32 v1, 16, v11
	v_fma_mixlo_f16 v6, v7, v10, 0 op_sel:[0,1,0] op_sel_hi:[0,1,0]
	global_store_b8 v8, v5, s[2:3]
	s_mov_b32 s0, exec_lo
	v_mul_f16_e32 v1, v1, v6
	s_delay_alu instid0(VALU_DEP_1) | instskip(NEXT) | instid1(VALU_DEP_1)
	v_cvt_f32_f16_e32 v1, v1
	v_mul_f32_e32 v1, v9, v1
	s_delay_alu instid0(VALU_DEP_1) | instskip(NEXT) | instid1(VALU_DEP_1)
	v_minmax_f32 v11, v1, s13, 0xc3600000
	v_lshrrev_b32_e32 v10, 24, v11
	v_and_b32_e32 v1, 0x7f800000, v11
	s_delay_alu instid0(VALU_DEP_2) | instskip(NEXT) | instid1(VALU_DEP_2)
	v_or_b32_e32 v6, 0x7f, v10
	v_cmpx_ne_u64_e32 0x7f800000, v[1:2]
	s_xor_b32 s14, exec_lo, s0
	s_cbranch_execz .LBB18_30
; %bb.42:                               ;   in Loop: Header=BB18_31 Depth=1
	v_and_b32_e32 v1, 0x7fffffff, v11
	s_mov_b32 s0, exec_lo
	s_delay_alu instid0(VALU_DEP_1)
	v_cmpx_gt_u64_e32 0x43700001, v[1:2]
	s_xor_b32 s15, exec_lo, s0
	s_cbranch_execz .LBB18_29
; %bb.43:                               ;   in Loop: Header=BB18_31 Depth=1
	v_mov_b32_e32 v6, 0
	s_mov_b32 s16, exec_lo
	v_cmpx_ne_u32_e32 0, v11
	s_cbranch_execz .LBB18_28
; %bb.44:                               ;   in Loop: Header=BB18_31 Depth=1
	v_bfe_u32 v15, v11, 23, 8
	v_and_b32_e32 v5, 0x7fffff, v11
	s_delay_alu instid0(VALU_DEP_2) | instskip(SKIP_2) | instid1(VALU_DEP_3)
	v_sub_nc_u32_e64 v1, 0x78, v15 clamp
	v_cmp_eq_u32_e32 vcc_lo, 0, v15
	v_add_nc_u32_e32 v15, 0xffffff89, v15
	v_cndmask_b32_e64 v16, v1, 0x77, vcc_lo
	v_or_b32_e32 v1, 0x800000, v5
	s_delay_alu instid0(VALU_DEP_1) | instskip(SKIP_1) | instid1(VALU_DEP_2)
	v_dual_cndmask_b32 v1, v1, v5 :: v_dual_add_nc_u32 v6, 20, v16
	v_add_nc_u32_e32 v11, 19, v16
	v_lshlrev_b64 v[5:6], v6, -1
	s_delay_alu instid0(VALU_DEP_3) | instskip(NEXT) | instid1(VALU_DEP_3)
	v_lshrrev_b64 v[13:14], v16, v[1:2]
	v_lshlrev_b64 v[11:12], v11, 1
	v_mov_b32_e32 v6, v2
	s_delay_alu instid0(VALU_DEP_4) | instskip(NEXT) | instid1(VALU_DEP_1)
	v_not_b32_e32 v5, v5
	v_and_b32_e32 v5, v1, v5
	v_and_b32_e32 v1, 0x100000, v13
	s_delay_alu instid0(VALU_DEP_2) | instskip(NEXT) | instid1(VALU_DEP_2)
	v_cmp_eq_u64_e64 s0, v[5:6], v[11:12]
	v_cmp_eq_u64_e64 s1, 0, v[1:2]
	v_cndmask_b32_e64 v1, v15, 0xffffff8a, vcc_lo
	v_lshrrev_b32_e32 v5, 23, v13
	s_delay_alu instid0(VALU_DEP_3) | instskip(NEXT) | instid1(VALU_DEP_1)
	s_and_b32 vcc_lo, s1, s0
	v_add3_u32 v11, v1, v16, v5
	v_subrev_co_ci_u32_e32 v6, vcc_lo, 0, v13, vcc_lo
	s_mov_b32 s0, exec_lo
	s_delay_alu instid0(VALU_DEP_2) | instskip(NEXT) | instid1(VALU_DEP_2)
	v_add_nc_u32_e32 v12, -1, v11
	v_and_b32_e32 v1, 0xfffff, v6
	s_delay_alu instid0(VALU_DEP_1) | instskip(SKIP_1) | instid1(VALU_DEP_4)
	v_add_co_u32 v5, vcc_lo, v1, v13
	v_add_co_ci_u32_e32 v6, vcc_lo, 0, v14, vcc_lo
                                        ; implicit-def: $vgpr1
	v_cmpx_ne_u32_e32 0, v12
	s_xor_b32 s0, exec_lo, s0
; %bb.45:                               ;   in Loop: Header=BB18_31 Depth=1
	s_delay_alu instid0(VALU_DEP_3) | instskip(SKIP_1) | instid1(VALU_DEP_2)
	v_and_b32_e32 v1, 0x1000000, v5
	v_bfe_u32 v13, v5, 24, 1
	v_cmp_eq_u64_e32 vcc_lo, 0, v[1:2]
	s_delay_alu instid0(VALU_DEP_2)
	v_lshrrev_b64 v[5:6], v13, v[5:6]
	v_cndmask_b32_e32 v1, v11, v12, vcc_lo
; %bb.46:                               ;   in Loop: Header=BB18_31 Depth=1
	s_and_not1_saveexec_b32 s0, s0
	s_cbranch_execz .LBB18_27
; %bb.47:                               ;   in Loop: Header=BB18_31 Depth=1
	s_delay_alu instid0(VALU_DEP_2)
	v_bfe_u32 v1, v5, 23, 1
	s_branch .LBB18_27
.LBB18_48:
	s_nop 0
	s_sendmsg sendmsg(MSG_DEALLOC_VGPRS)
	s_endpgm
	.section	.rodata,"a",@progbits
	.p2align	6, 0x0
	.amdhsa_kernel _ZN4vllm32rms_norm_static_fp8_quant_kernelIN3c104HalfENS1_15Float8_e4m3fnuzELi2EEEvPT0_PKT_iS8_PKffii
		.amdhsa_group_segment_fixed_size 132
		.amdhsa_private_segment_fixed_size 0
		.amdhsa_kernarg_size 312
		.amdhsa_user_sgpr_count 15
		.amdhsa_user_sgpr_dispatch_ptr 0
		.amdhsa_user_sgpr_queue_ptr 0
		.amdhsa_user_sgpr_kernarg_segment_ptr 1
		.amdhsa_user_sgpr_dispatch_id 0
		.amdhsa_user_sgpr_private_segment_size 0
		.amdhsa_wavefront_size32 1
		.amdhsa_uses_dynamic_stack 0
		.amdhsa_enable_private_segment 0
		.amdhsa_system_sgpr_workgroup_id_x 1
		.amdhsa_system_sgpr_workgroup_id_y 0
		.amdhsa_system_sgpr_workgroup_id_z 0
		.amdhsa_system_sgpr_workgroup_info 0
		.amdhsa_system_vgpr_workitem_id 0
		.amdhsa_next_free_vgpr 19
		.amdhsa_next_free_sgpr 20
		.amdhsa_reserve_vcc 1
		.amdhsa_float_round_mode_32 0
		.amdhsa_float_round_mode_16_64 0
		.amdhsa_float_denorm_mode_32 3
		.amdhsa_float_denorm_mode_16_64 3
		.amdhsa_dx10_clamp 1
		.amdhsa_ieee_mode 1
		.amdhsa_fp16_overflow 0
		.amdhsa_workgroup_processor_mode 1
		.amdhsa_memory_ordered 1
		.amdhsa_forward_progress 0
		.amdhsa_shared_vgpr_count 0
		.amdhsa_exception_fp_ieee_invalid_op 0
		.amdhsa_exception_fp_denorm_src 0
		.amdhsa_exception_fp_ieee_div_zero 0
		.amdhsa_exception_fp_ieee_overflow 0
		.amdhsa_exception_fp_ieee_underflow 0
		.amdhsa_exception_fp_ieee_inexact 0
		.amdhsa_exception_int_div_zero 0
	.end_amdhsa_kernel
	.section	.text._ZN4vllm32rms_norm_static_fp8_quant_kernelIN3c104HalfENS1_15Float8_e4m3fnuzELi2EEEvPT0_PKT_iS8_PKffii,"axG",@progbits,_ZN4vllm32rms_norm_static_fp8_quant_kernelIN3c104HalfENS1_15Float8_e4m3fnuzELi2EEEvPT0_PKT_iS8_PKffii,comdat
.Lfunc_end18:
	.size	_ZN4vllm32rms_norm_static_fp8_quant_kernelIN3c104HalfENS1_15Float8_e4m3fnuzELi2EEEvPT0_PKT_iS8_PKffii, .Lfunc_end18-_ZN4vllm32rms_norm_static_fp8_quant_kernelIN3c104HalfENS1_15Float8_e4m3fnuzELi2EEEvPT0_PKT_iS8_PKffii
                                        ; -- End function
	.section	.AMDGPU.csdata,"",@progbits
; Kernel info:
; codeLenInByte = 2940
; NumSgprs: 22
; NumVgprs: 19
; ScratchSize: 0
; MemoryBound: 0
; FloatMode: 240
; IeeeMode: 1
; LDSByteSize: 132 bytes/workgroup (compile time only)
; SGPRBlocks: 2
; VGPRBlocks: 2
; NumSGPRsForWavesPerEU: 22
; NumVGPRsForWavesPerEU: 19
; Occupancy: 16
; WaveLimiterHint : 0
; COMPUTE_PGM_RSRC2:SCRATCH_EN: 0
; COMPUTE_PGM_RSRC2:USER_SGPR: 15
; COMPUTE_PGM_RSRC2:TRAP_HANDLER: 0
; COMPUTE_PGM_RSRC2:TGID_X_EN: 1
; COMPUTE_PGM_RSRC2:TGID_Y_EN: 0
; COMPUTE_PGM_RSRC2:TGID_Z_EN: 0
; COMPUTE_PGM_RSRC2:TIDIG_COMP_CNT: 0
	.section	.text._ZN4vllm32rms_norm_static_fp8_quant_kernelIN3c104HalfENS1_15Float8_e4m3fnuzELi1EEEvPT0_PKT_iS8_PKffii,"axG",@progbits,_ZN4vllm32rms_norm_static_fp8_quant_kernelIN3c104HalfENS1_15Float8_e4m3fnuzELi1EEEvPT0_PKT_iS8_PKffii,comdat
	.protected	_ZN4vllm32rms_norm_static_fp8_quant_kernelIN3c104HalfENS1_15Float8_e4m3fnuzELi1EEEvPT0_PKT_iS8_PKffii ; -- Begin function _ZN4vllm32rms_norm_static_fp8_quant_kernelIN3c104HalfENS1_15Float8_e4m3fnuzELi1EEEvPT0_PKT_iS8_PKffii
	.globl	_ZN4vllm32rms_norm_static_fp8_quant_kernelIN3c104HalfENS1_15Float8_e4m3fnuzELi1EEEvPT0_PKT_iS8_PKffii
	.p2align	8
	.type	_ZN4vllm32rms_norm_static_fp8_quant_kernelIN3c104HalfENS1_15Float8_e4m3fnuzELi1EEEvPT0_PKT_iS8_PKffii,@function
_ZN4vllm32rms_norm_static_fp8_quant_kernelIN3c104HalfENS1_15Float8_e4m3fnuzELi1EEEvPT0_PKT_iS8_PKffii: ; @_ZN4vllm32rms_norm_static_fp8_quant_kernelIN3c104HalfENS1_15Float8_e4m3fnuzELi1EEEvPT0_PKT_iS8_PKffii
; %bb.0:
	s_clause 0x3
	s_load_b32 s2, s[0:1], 0x10
	s_load_b64 s[4:5], s[0:1], 0x8
	s_load_b32 s11, s[0:1], 0x44
	s_load_b32 s8, s[0:1], 0x30
	s_mov_b32 s3, 0
	s_waitcnt lgkmcnt(0)
	s_mul_i32 s2, s15, s2
	s_delay_alu instid0(SALU_CYCLE_1) | instskip(NEXT) | instid1(SALU_CYCLE_1)
	s_lshl_b64 s[6:7], s[2:3], 1
	s_add_u32 s9, s4, s6
	s_addc_u32 s10, s5, s7
	s_and_b32 s11, s11, 0xffff
	s_bitcmp1_b32 s9, 0
	s_cselect_b32 s2, -1, 0
	s_delay_alu instid0(SALU_CYCLE_1)
	s_and_b32 vcc_lo, exec_lo, s2
	s_cbranch_vccz .LBB19_6
; %bb.1:
	v_mov_b32_e32 v3, 0
	s_min_i32 s2, s8, 0
	s_mov_b32 s12, exec_lo
	s_sub_i32 s13, s8, s2
	s_delay_alu instid0(SALU_CYCLE_1)
	v_cmpx_gt_i32_e64 s13, v0
	s_cbranch_execz .LBB19_5
; %bb.2:
	s_ashr_i32 s3, s2, 31
	v_dual_mov_b32 v4, v0 :: v_dual_lshlrev_b32 v1, 1, v0
	s_lshl_b64 s[2:3], s[2:3], 1
	s_add_u32 s14, s4, s6
	s_addc_u32 s16, s5, s7
	s_add_u32 s2, s14, s2
	s_addc_u32 s3, s16, s3
	v_add_co_u32 v1, s2, s2, v1
	s_delay_alu instid0(VALU_DEP_1)
	v_add_co_ci_u32_e64 v2, null, s3, 0, s2
	v_mov_b32_e32 v3, 0
	s_mov_b32 s3, 0
	s_lshl_b32 s14, s11, 1
.LBB19_3:                               ; =>This Inner Loop Header: Depth=1
	global_load_u16 v5, v[1:2], off
	v_add_nc_u32_e32 v4, s11, v4
	v_add_co_u32 v1, vcc_lo, v1, s14
	v_add_co_ci_u32_e32 v2, vcc_lo, 0, v2, vcc_lo
	s_delay_alu instid0(VALU_DEP_3) | instskip(NEXT) | instid1(VALU_DEP_1)
	v_cmp_le_i32_e64 s2, s13, v4
	s_or_b32 s3, s2, s3
	s_waitcnt vmcnt(0)
	v_fma_mix_f32 v3, v5, v5, v3 op_sel_hi:[1,1,0]
	s_and_not1_b32 exec_lo, exec_lo, s3
	s_cbranch_execnz .LBB19_3
; %bb.4:
	s_or_b32 exec_lo, exec_lo, s3
.LBB19_5:
	s_delay_alu instid0(SALU_CYCLE_1)
	s_or_b32 exec_lo, exec_lo, s12
	v_cmp_gt_i32_e64 s2, s8, v0
	s_cbranch_execz .LBB19_7
	s_branch .LBB19_12
.LBB19_6:
                                        ; implicit-def: $vgpr3
	v_cmp_gt_i32_e64 s2, s8, v0
.LBB19_7:
	v_mov_b32_e32 v3, 0
	s_delay_alu instid0(VALU_DEP_2)
	s_and_saveexec_b32 s3, s2
	s_cbranch_execz .LBB19_11
; %bb.8:
	v_dual_mov_b32 v4, v0 :: v_dual_lshlrev_b32 v1, 1, v0
	s_add_u32 s2, s4, s6
	s_addc_u32 s4, s5, s7
	v_mov_b32_e32 v3, 0
	s_delay_alu instid0(VALU_DEP_2) | instskip(NEXT) | instid1(VALU_DEP_1)
	v_add_co_u32 v1, s2, s2, v1
	v_add_co_ci_u32_e64 v2, null, s4, 0, s2
	s_mov_b32 s4, 0
	s_lshl_b32 s5, s11, 1
.LBB19_9:                               ; =>This Inner Loop Header: Depth=1
	global_load_u16 v5, v[1:2], off
	v_add_nc_u32_e32 v4, s11, v4
	v_add_co_u32 v1, vcc_lo, v1, s5
	v_add_co_ci_u32_e32 v2, vcc_lo, 0, v2, vcc_lo
	s_delay_alu instid0(VALU_DEP_3) | instskip(NEXT) | instid1(VALU_DEP_1)
	v_cmp_le_i32_e64 s2, s8, v4
	s_or_b32 s4, s2, s4
	s_waitcnt vmcnt(0)
	v_fma_mix_f32 v3, v5, v5, v3 op_sel_hi:[1,1,0]
	s_and_not1_b32 exec_lo, exec_lo, s4
	s_cbranch_execnz .LBB19_9
; %bb.10:
	s_or_b32 exec_lo, exec_lo, s4
.LBB19_11:
	s_delay_alu instid0(SALU_CYCLE_1)
	s_or_b32 exec_lo, exec_lo, s3
.LBB19_12:
	v_mbcnt_lo_u32_b32 v1, -1, 0
	s_mov_b32 s2, exec_lo
	s_delay_alu instid0(VALU_DEP_1) | instskip(SKIP_2) | instid1(VALU_DEP_2)
	v_cmp_ne_u32_e32 vcc_lo, 31, v1
	v_add_co_ci_u32_e32 v2, vcc_lo, 0, v1, vcc_lo
	v_cmp_gt_u32_e32 vcc_lo, 30, v1
	v_lshlrev_b32_e32 v2, 2, v2
	v_cndmask_b32_e64 v6, 0, 1, vcc_lo
	ds_bpermute_b32 v5, v2, v3
	s_waitcnt lgkmcnt(0)
	v_dual_add_f32 v7, v3, v5 :: v_dual_and_b32 v4, 0x3e0, v0
	s_delay_alu instid0(VALU_DEP_1) | instskip(SKIP_1) | instid1(VALU_DEP_1)
	v_sub_nc_u32_e64 v12, s11, v4 clamp
	v_add_nc_u32_e32 v4, 1, v1
	v_cmp_lt_u32_e32 vcc_lo, v4, v12
	s_delay_alu instid0(VALU_DEP_4) | instskip(SKIP_2) | instid1(VALU_DEP_1)
	v_cndmask_b32_e32 v7, v3, v7, vcc_lo
	v_cmp_gt_u32_e32 vcc_lo, 28, v1
	v_cndmask_b32_e64 v3, 0, 1, vcc_lo
	v_lshlrev_b32_e32 v8, 2, v3
	v_add_nc_u32_e32 v3, 2, v1
	s_delay_alu instid0(VALU_DEP_1) | instskip(SKIP_1) | instid1(VALU_DEP_1)
	v_cmp_lt_u32_e32 vcc_lo, v3, v12
	v_lshlrev_b32_e32 v6, 1, v6
	v_add_lshl_u32 v5, v6, v1, 2
	ds_bpermute_b32 v6, v5, v7
	s_waitcnt lgkmcnt(0)
	v_add_f32_e32 v9, v7, v6
	v_add_lshl_u32 v6, v8, v1, 2
	s_delay_alu instid0(VALU_DEP_2) | instskip(SKIP_3) | instid1(VALU_DEP_1)
	v_cndmask_b32_e32 v9, v7, v9, vcc_lo
	v_cmp_gt_u32_e32 vcc_lo, 24, v1
	ds_bpermute_b32 v8, v6, v9
	v_cndmask_b32_e64 v7, 0, 1, vcc_lo
	v_lshlrev_b32_e32 v10, 3, v7
	v_add_nc_u32_e32 v7, 4, v1
	s_delay_alu instid0(VALU_DEP_1) | instskip(SKIP_3) | instid1(VALU_DEP_2)
	v_cmp_lt_u32_e32 vcc_lo, v7, v12
	s_waitcnt lgkmcnt(0)
	v_add_f32_e32 v11, v9, v8
	v_add_lshl_u32 v8, v10, v1, 2
	v_cndmask_b32_e32 v11, v9, v11, vcc_lo
	v_cmp_gt_u32_e32 vcc_lo, 16, v1
	ds_bpermute_b32 v10, v8, v11
	v_cndmask_b32_e64 v9, 0, 1, vcc_lo
	s_delay_alu instid0(VALU_DEP_1) | instskip(SKIP_1) | instid1(VALU_DEP_1)
	v_lshlrev_b32_e32 v13, 4, v9
	v_add_nc_u32_e32 v9, 8, v1
	v_cmp_lt_u32_e32 vcc_lo, v9, v12
	s_waitcnt lgkmcnt(0)
	v_add_f32_e32 v14, v11, v10
	v_add_lshl_u32 v10, v13, v1, 2
	s_delay_alu instid0(VALU_DEP_2)
	v_cndmask_b32_e32 v13, v11, v14, vcc_lo
	v_add_nc_u32_e32 v11, 16, v1
	ds_bpermute_b32 v14, v10, v13
	v_cmp_lt_u32_e32 vcc_lo, v11, v12
	s_waitcnt lgkmcnt(0)
	v_add_f32_e32 v14, v13, v14
	s_delay_alu instid0(VALU_DEP_1)
	v_cndmask_b32_e32 v12, v13, v14, vcc_lo
	v_cmpx_eq_u32_e32 0, v1
	s_cbranch_execz .LBB19_14
; %bb.13:
	v_lshrrev_b32_e32 v13, 3, v0
	s_delay_alu instid0(VALU_DEP_1)
	v_and_b32_e32 v13, 0x7c, v13
	ds_store_b32 v13, v12
.LBB19_14:
	s_or_b32 exec_lo, exec_lo, s2
	s_delay_alu instid0(SALU_CYCLE_1)
	s_mov_b32 s2, exec_lo
	s_waitcnt lgkmcnt(0)
	s_barrier
	buffer_gl0_inv
	v_cmpx_gt_u32_e32 32, v0
	s_cbranch_execz .LBB19_16
; %bb.15:
	v_lshlrev_b32_e32 v1, 2, v1
	s_add_i32 s3, s11, 31
	s_delay_alu instid0(SALU_CYCLE_1) | instskip(NEXT) | instid1(SALU_CYCLE_1)
	s_lshr_b32 s3, s3, 5
	v_cmp_gt_u32_e32 vcc_lo, s3, v4
	ds_load_b32 v1, v1
	s_waitcnt lgkmcnt(0)
	ds_bpermute_b32 v2, v2, v1
	s_waitcnt lgkmcnt(0)
	v_add_f32_e32 v2, v1, v2
	s_delay_alu instid0(VALU_DEP_1) | instskip(SKIP_4) | instid1(VALU_DEP_1)
	v_cndmask_b32_e32 v1, v1, v2, vcc_lo
	v_cmp_gt_u32_e32 vcc_lo, s3, v3
	ds_bpermute_b32 v2, v5, v1
	s_waitcnt lgkmcnt(0)
	v_add_f32_e32 v2, v1, v2
	v_cndmask_b32_e32 v1, v1, v2, vcc_lo
	v_cmp_gt_u32_e32 vcc_lo, s3, v7
	ds_bpermute_b32 v2, v6, v1
	s_waitcnt lgkmcnt(0)
	v_add_f32_e32 v2, v1, v2
	s_delay_alu instid0(VALU_DEP_1) | instskip(SKIP_4) | instid1(VALU_DEP_1)
	v_cndmask_b32_e32 v1, v1, v2, vcc_lo
	v_cmp_gt_u32_e32 vcc_lo, s3, v9
	ds_bpermute_b32 v2, v8, v1
	s_waitcnt lgkmcnt(0)
	v_add_f32_e32 v2, v1, v2
	v_cndmask_b32_e32 v1, v1, v2, vcc_lo
	v_cmp_gt_u32_e32 vcc_lo, s3, v11
	ds_bpermute_b32 v2, v10, v1
	s_waitcnt lgkmcnt(0)
	v_add_f32_e32 v2, v1, v2
	s_delay_alu instid0(VALU_DEP_1)
	v_cndmask_b32_e32 v12, v1, v2, vcc_lo
.LBB19_16:
	s_or_b32 exec_lo, exec_lo, s2
	s_delay_alu instid0(SALU_CYCLE_1)
	s_mov_b32 s2, exec_lo
	v_cmpx_eq_u32_e32 0, v0
	s_cbranch_execz .LBB19_18
; %bb.17:
	v_cvt_f32_i32_e32 v1, s8
	s_load_b32 s3, s[0:1], 0x28
	s_delay_alu instid0(VALU_DEP_1) | instskip(SKIP_1) | instid1(VALU_DEP_2)
	v_div_scale_f32 v2, null, v1, v1, v12
	v_div_scale_f32 v5, vcc_lo, v12, v1, v12
	v_rcp_f32_e32 v3, v2
	s_waitcnt_depctr 0xfff
	v_fma_f32 v4, -v2, v3, 1.0
	s_delay_alu instid0(VALU_DEP_1) | instskip(NEXT) | instid1(VALU_DEP_1)
	v_fmac_f32_e32 v3, v4, v3
	v_mul_f32_e32 v4, v5, v3
	s_delay_alu instid0(VALU_DEP_1) | instskip(NEXT) | instid1(VALU_DEP_1)
	v_fma_f32 v6, -v2, v4, v5
	v_fmac_f32_e32 v4, v6, v3
	s_delay_alu instid0(VALU_DEP_1) | instskip(NEXT) | instid1(VALU_DEP_1)
	v_fma_f32 v2, -v2, v4, v5
	v_div_fmas_f32 v2, v2, v3, v4
	s_delay_alu instid0(VALU_DEP_1) | instskip(SKIP_1) | instid1(VALU_DEP_1)
	v_div_fixup_f32 v1, v2, v1, v12
	s_waitcnt lgkmcnt(0)
	v_add_f32_e32 v1, s3, v1
	s_delay_alu instid0(VALU_DEP_1) | instskip(SKIP_1) | instid1(VALU_DEP_2)
	v_mul_f32_e32 v2, 0x4b800000, v1
	v_cmp_gt_f32_e32 vcc_lo, 0x800000, v1
	v_cndmask_b32_e32 v1, v1, v2, vcc_lo
	s_delay_alu instid0(VALU_DEP_1) | instskip(SKIP_2) | instid1(VALU_DEP_1)
	v_rsq_f32_e32 v1, v1
	s_waitcnt_depctr 0xfff
	v_mul_f32_e32 v2, 0x45800000, v1
	v_dual_cndmask_b32 v1, v1, v2 :: v_dual_mov_b32 v2, 0
	ds_store_b32 v2, v1 offset:128
.LBB19_18:
	s_or_b32 exec_lo, exec_lo, s2
	s_waitcnt lgkmcnt(0)
	s_barrier
	buffer_gl0_inv
	s_mov_b32 s2, exec_lo
	v_cmpx_gt_i32_e64 s8, v0
	s_cbranch_execz .LBB19_31
; %bb.19:
	s_clause 0x1
	s_load_b128 s[4:7], s[0:1], 0x18
	s_load_b64 s[2:3], s[0:1], 0x0
	s_mul_i32 s15, s15, s8
	s_waitcnt lgkmcnt(0)
	s_load_b32 s6, s[6:7], 0x0
	s_mov_b32 s7, 0x43600000
	s_waitcnt lgkmcnt(0)
	v_div_scale_f32 v1, null, s6, s6, 1.0
	v_div_scale_f32 v4, vcc_lo, 1.0, s6, 1.0
	s_delay_alu instid0(VALU_DEP_2) | instskip(SKIP_2) | instid1(VALU_DEP_1)
	v_rcp_f32_e32 v3, v1
	s_waitcnt_depctr 0xfff
	v_fma_f32 v2, -v1, v3, 1.0
	v_dual_fmac_f32 v3, v2, v3 :: v_dual_mov_b32 v2, 0
	s_delay_alu instid0(VALU_DEP_1) | instskip(NEXT) | instid1(VALU_DEP_1)
	v_mul_f32_e32 v6, v4, v3
	v_fma_f32 v5, -v1, v6, v4
	s_delay_alu instid0(VALU_DEP_1) | instskip(SKIP_2) | instid1(VALU_DEP_1)
	v_fmac_f32_e32 v6, v5, v3
	ds_load_b32 v5, v2 offset:128
	v_fma_f32 v1, -v1, v6, v4
	v_div_fmas_f32 v1, v1, v3, v6
	s_delay_alu instid0(VALU_DEP_1)
	v_div_fixup_f32 v6, v1, s6, 1.0
	s_mov_b32 s6, 0
	s_branch .LBB19_24
.LBB19_20:                              ;   in Loop: Header=BB19_24 Depth=1
	s_or_b32 exec_lo, exec_lo, s0
	s_delay_alu instid0(VALU_DEP_2) | instskip(NEXT) | instid1(VALU_DEP_2)
	v_lshrrev_b64 v[3:4], 20, v[3:4]
	v_cmp_gt_i32_e32 vcc_lo, 16, v1
	v_and_b32_e32 v7, 0x80, v7
	v_min_i32_e32 v8, 15, v1
	v_cmp_eq_u32_e64 s0, 0, v1
	v_dual_cndmask_b32 v4, 0, v4 :: v_dual_cndmask_b32 v3, 7, v3
	s_delay_alu instid0(VALU_DEP_3) | instskip(NEXT) | instid1(VALU_DEP_2)
	v_lshl_or_b32 v7, v8, 3, v7
	v_cmp_eq_u64_e32 vcc_lo, 0, v[3:4]
	s_delay_alu instid0(VALU_DEP_2)
	v_and_or_b32 v1, v3, 7, v7
	s_and_b32 s0, s0, vcc_lo
	s_delay_alu instid0(VALU_DEP_1) | instid1(SALU_CYCLE_1)
	v_cndmask_b32_e64 v3, v1, 0, s0
.LBB19_21:                              ;   in Loop: Header=BB19_24 Depth=1
	s_or_b32 exec_lo, exec_lo, s14
.LBB19_22:                              ;   in Loop: Header=BB19_24 Depth=1
	s_and_not1_saveexec_b32 s0, s13
	s_delay_alu instid0(SALU_CYCLE_1)
	s_or_b32 exec_lo, exec_lo, s0
.LBB19_23:                              ;   in Loop: Header=BB19_24 Depth=1
	s_and_not1_saveexec_b32 s0, s12
	s_delay_alu instid0(SALU_CYCLE_1)
	s_or_b32 exec_lo, exec_lo, s0
	v_add_nc_u32_e32 v1, s15, v0
	v_add_nc_u32_e32 v0, s11, v0
	global_store_b8 v1, v3, s[2:3]
	v_cmp_le_i32_e32 vcc_lo, s8, v0
	s_or_b32 s6, vcc_lo, s6
	s_delay_alu instid0(SALU_CYCLE_1)
	s_and_not1_b32 exec_lo, exec_lo, s6
	s_cbranch_execz .LBB19_31
.LBB19_24:                              ; =>This Inner Loop Header: Depth=1
	v_ashrrev_i32_e32 v1, 31, v0
	s_mov_b32 s0, exec_lo
	s_delay_alu instid0(VALU_DEP_1) | instskip(NEXT) | instid1(VALU_DEP_1)
	v_lshlrev_b64 v[3:4], 1, v[0:1]
	v_add_co_u32 v7, vcc_lo, s9, v3
	s_delay_alu instid0(VALU_DEP_2)
	v_add_co_ci_u32_e32 v8, vcc_lo, s10, v4, vcc_lo
	v_add_co_u32 v3, vcc_lo, s4, v3
	v_add_co_ci_u32_e32 v4, vcc_lo, s5, v4, vcc_lo
	global_load_u16 v1, v[7:8], off
	global_load_u16 v3, v[3:4], off
	s_waitcnt vmcnt(1) lgkmcnt(0)
	v_fma_mixlo_f16 v1, v5, v1, 0 op_sel_hi:[0,1,0]
	s_waitcnt vmcnt(0)
	s_delay_alu instid0(VALU_DEP_1) | instskip(NEXT) | instid1(VALU_DEP_1)
	v_mul_f16_e32 v1, v3, v1
	v_cvt_f32_f16_e32 v1, v1
	s_delay_alu instid0(VALU_DEP_1) | instskip(NEXT) | instid1(VALU_DEP_1)
	v_mul_f32_e32 v1, v6, v1
	v_minmax_f32 v4, v1, s7, 0xc3600000
	s_delay_alu instid0(VALU_DEP_1) | instskip(SKIP_1) | instid1(VALU_DEP_2)
	v_lshrrev_b32_e32 v7, 24, v4
	v_and_b32_e32 v1, 0x7f800000, v4
	v_or_b32_e32 v3, 0x7f, v7
	s_delay_alu instid0(VALU_DEP_2)
	v_cmpx_ne_u64_e32 0x7f800000, v[1:2]
	s_xor_b32 s12, exec_lo, s0
	s_cbranch_execz .LBB19_23
; %bb.25:                               ;   in Loop: Header=BB19_24 Depth=1
	v_and_b32_e32 v1, 0x7fffffff, v4
	s_mov_b32 s0, exec_lo
	s_delay_alu instid0(VALU_DEP_1)
	v_cmpx_gt_u64_e32 0x43700001, v[1:2]
	s_xor_b32 s13, exec_lo, s0
	s_cbranch_execz .LBB19_22
; %bb.26:                               ;   in Loop: Header=BB19_24 Depth=1
	v_mov_b32_e32 v3, 0
	s_mov_b32 s14, exec_lo
	v_cmpx_ne_u32_e32 0, v4
	s_cbranch_execz .LBB19_21
; %bb.27:                               ;   in Loop: Header=BB19_24 Depth=1
	v_bfe_u32 v12, v4, 23, 8
	v_and_b32_e32 v3, 0x7fffff, v4
	s_delay_alu instid0(VALU_DEP_2) | instskip(SKIP_2) | instid1(VALU_DEP_3)
	v_sub_nc_u32_e64 v1, 0x78, v12 clamp
	v_cmp_eq_u32_e32 vcc_lo, 0, v12
	v_add_nc_u32_e32 v12, 0xffffff89, v12
	v_cndmask_b32_e64 v13, v1, 0x77, vcc_lo
	v_or_b32_e32 v1, 0x800000, v3
	s_delay_alu instid0(VALU_DEP_1) | instskip(SKIP_1) | instid1(VALU_DEP_2)
	v_dual_cndmask_b32 v1, v1, v3 :: v_dual_add_nc_u32 v4, 20, v13
	v_add_nc_u32_e32 v8, 19, v13
	v_lshlrev_b64 v[3:4], v4, -1
	s_delay_alu instid0(VALU_DEP_3) | instskip(NEXT) | instid1(VALU_DEP_3)
	v_lshrrev_b64 v[10:11], v13, v[1:2]
	v_lshlrev_b64 v[8:9], v8, 1
	v_mov_b32_e32 v4, v2
	s_delay_alu instid0(VALU_DEP_4) | instskip(NEXT) | instid1(VALU_DEP_1)
	v_not_b32_e32 v3, v3
	v_and_b32_e32 v3, v1, v3
	v_and_b32_e32 v1, 0x100000, v10
	s_delay_alu instid0(VALU_DEP_2) | instskip(NEXT) | instid1(VALU_DEP_2)
	v_cmp_eq_u64_e64 s0, v[3:4], v[8:9]
	v_cmp_eq_u64_e64 s1, 0, v[1:2]
	v_cndmask_b32_e64 v1, v12, 0xffffff8a, vcc_lo
	v_lshrrev_b32_e32 v3, 23, v10
	s_delay_alu instid0(VALU_DEP_3) | instskip(NEXT) | instid1(VALU_DEP_1)
	s_and_b32 vcc_lo, s1, s0
	v_add3_u32 v8, v1, v13, v3
	v_subrev_co_ci_u32_e32 v4, vcc_lo, 0, v10, vcc_lo
	s_mov_b32 s0, exec_lo
	s_delay_alu instid0(VALU_DEP_2) | instskip(NEXT) | instid1(VALU_DEP_2)
	v_add_nc_u32_e32 v9, -1, v8
	v_and_b32_e32 v1, 0xfffff, v4
	s_delay_alu instid0(VALU_DEP_1) | instskip(SKIP_1) | instid1(VALU_DEP_4)
	v_add_co_u32 v3, vcc_lo, v1, v10
	v_add_co_ci_u32_e32 v4, vcc_lo, 0, v11, vcc_lo
                                        ; implicit-def: $vgpr1
	v_cmpx_ne_u32_e32 0, v9
	s_xor_b32 s0, exec_lo, s0
; %bb.28:                               ;   in Loop: Header=BB19_24 Depth=1
	s_delay_alu instid0(VALU_DEP_3) | instskip(SKIP_1) | instid1(VALU_DEP_2)
	v_and_b32_e32 v1, 0x1000000, v3
	v_bfe_u32 v10, v3, 24, 1
	v_cmp_eq_u64_e32 vcc_lo, 0, v[1:2]
	s_delay_alu instid0(VALU_DEP_2)
	v_lshrrev_b64 v[3:4], v10, v[3:4]
	v_cndmask_b32_e32 v1, v8, v9, vcc_lo
; %bb.29:                               ;   in Loop: Header=BB19_24 Depth=1
	s_and_not1_saveexec_b32 s0, s0
	s_cbranch_execz .LBB19_20
; %bb.30:                               ;   in Loop: Header=BB19_24 Depth=1
	s_delay_alu instid0(VALU_DEP_2)
	v_bfe_u32 v1, v3, 23, 1
	s_branch .LBB19_20
.LBB19_31:
	s_nop 0
	s_sendmsg sendmsg(MSG_DEALLOC_VGPRS)
	s_endpgm
	.section	.rodata,"a",@progbits
	.p2align	6, 0x0
	.amdhsa_kernel _ZN4vllm32rms_norm_static_fp8_quant_kernelIN3c104HalfENS1_15Float8_e4m3fnuzELi1EEEvPT0_PKT_iS8_PKffii
		.amdhsa_group_segment_fixed_size 132
		.amdhsa_private_segment_fixed_size 0
		.amdhsa_kernarg_size 312
		.amdhsa_user_sgpr_count 15
		.amdhsa_user_sgpr_dispatch_ptr 0
		.amdhsa_user_sgpr_queue_ptr 0
		.amdhsa_user_sgpr_kernarg_segment_ptr 1
		.amdhsa_user_sgpr_dispatch_id 0
		.amdhsa_user_sgpr_private_segment_size 0
		.amdhsa_wavefront_size32 1
		.amdhsa_uses_dynamic_stack 0
		.amdhsa_enable_private_segment 0
		.amdhsa_system_sgpr_workgroup_id_x 1
		.amdhsa_system_sgpr_workgroup_id_y 0
		.amdhsa_system_sgpr_workgroup_id_z 0
		.amdhsa_system_sgpr_workgroup_info 0
		.amdhsa_system_vgpr_workitem_id 0
		.amdhsa_next_free_vgpr 15
		.amdhsa_next_free_sgpr 17
		.amdhsa_reserve_vcc 1
		.amdhsa_float_round_mode_32 0
		.amdhsa_float_round_mode_16_64 0
		.amdhsa_float_denorm_mode_32 3
		.amdhsa_float_denorm_mode_16_64 3
		.amdhsa_dx10_clamp 1
		.amdhsa_ieee_mode 1
		.amdhsa_fp16_overflow 0
		.amdhsa_workgroup_processor_mode 1
		.amdhsa_memory_ordered 1
		.amdhsa_forward_progress 0
		.amdhsa_shared_vgpr_count 0
		.amdhsa_exception_fp_ieee_invalid_op 0
		.amdhsa_exception_fp_denorm_src 0
		.amdhsa_exception_fp_ieee_div_zero 0
		.amdhsa_exception_fp_ieee_overflow 0
		.amdhsa_exception_fp_ieee_underflow 0
		.amdhsa_exception_fp_ieee_inexact 0
		.amdhsa_exception_int_div_zero 0
	.end_amdhsa_kernel
	.section	.text._ZN4vllm32rms_norm_static_fp8_quant_kernelIN3c104HalfENS1_15Float8_e4m3fnuzELi1EEEvPT0_PKT_iS8_PKffii,"axG",@progbits,_ZN4vllm32rms_norm_static_fp8_quant_kernelIN3c104HalfENS1_15Float8_e4m3fnuzELi1EEEvPT0_PKT_iS8_PKffii,comdat
.Lfunc_end19:
	.size	_ZN4vllm32rms_norm_static_fp8_quant_kernelIN3c104HalfENS1_15Float8_e4m3fnuzELi1EEEvPT0_PKT_iS8_PKffii, .Lfunc_end19-_ZN4vllm32rms_norm_static_fp8_quant_kernelIN3c104HalfENS1_15Float8_e4m3fnuzELi1EEEvPT0_PKT_iS8_PKffii
                                        ; -- End function
	.section	.AMDGPU.csdata,"",@progbits
; Kernel info:
; codeLenInByte = 2020
; NumSgprs: 19
; NumVgprs: 15
; ScratchSize: 0
; MemoryBound: 0
; FloatMode: 240
; IeeeMode: 1
; LDSByteSize: 132 bytes/workgroup (compile time only)
; SGPRBlocks: 2
; VGPRBlocks: 1
; NumSGPRsForWavesPerEU: 19
; NumVGPRsForWavesPerEU: 15
; Occupancy: 16
; WaveLimiterHint : 0
; COMPUTE_PGM_RSRC2:SCRATCH_EN: 0
; COMPUTE_PGM_RSRC2:USER_SGPR: 15
; COMPUTE_PGM_RSRC2:TRAP_HANDLER: 0
; COMPUTE_PGM_RSRC2:TGID_X_EN: 1
; COMPUTE_PGM_RSRC2:TGID_Y_EN: 0
; COMPUTE_PGM_RSRC2:TGID_Z_EN: 0
; COMPUTE_PGM_RSRC2:TIDIG_COMP_CNT: 0
	.section	.text._ZN4vllm32rms_norm_static_fp8_quant_kernelIN3c108BFloat16ENS1_13Float8_e4m3fnELi16EEEvPT0_PKT_iS8_PKffii,"axG",@progbits,_ZN4vllm32rms_norm_static_fp8_quant_kernelIN3c108BFloat16ENS1_13Float8_e4m3fnELi16EEEvPT0_PKT_iS8_PKffii,comdat
	.protected	_ZN4vllm32rms_norm_static_fp8_quant_kernelIN3c108BFloat16ENS1_13Float8_e4m3fnELi16EEEvPT0_PKT_iS8_PKffii ; -- Begin function _ZN4vllm32rms_norm_static_fp8_quant_kernelIN3c108BFloat16ENS1_13Float8_e4m3fnELi16EEEvPT0_PKT_iS8_PKffii
	.globl	_ZN4vllm32rms_norm_static_fp8_quant_kernelIN3c108BFloat16ENS1_13Float8_e4m3fnELi16EEEvPT0_PKT_iS8_PKffii
	.p2align	8
	.type	_ZN4vllm32rms_norm_static_fp8_quant_kernelIN3c108BFloat16ENS1_13Float8_e4m3fnELi16EEEvPT0_PKT_iS8_PKffii,@function
_ZN4vllm32rms_norm_static_fp8_quant_kernelIN3c108BFloat16ENS1_13Float8_e4m3fnELi16EEEvPT0_PKT_iS8_PKffii: ; @_ZN4vllm32rms_norm_static_fp8_quant_kernelIN3c108BFloat16ENS1_13Float8_e4m3fnELi16EEEvPT0_PKT_iS8_PKffii
; %bb.0:
	s_clause 0x3
	s_load_b32 s2, s[0:1], 0x10
	s_load_b64 s[4:5], s[0:1], 0x8
	s_load_b32 s8, s[0:1], 0x44
	s_load_b32 s13, s[0:1], 0x30
	s_mov_b32 s3, 0
	s_waitcnt lgkmcnt(0)
	s_mul_i32 s2, s15, s2
	s_delay_alu instid0(SALU_CYCLE_1) | instskip(NEXT) | instid1(SALU_CYCLE_1)
	s_lshl_b64 s[6:7], s[2:3], 1
	s_add_u32 s10, s4, s6
	s_addc_u32 s11, s5, s7
	s_and_b32 s2, s10, 31
	s_and_b32 s12, s8, 0xffff
	s_cmp_lg_u64 s[2:3], 0
	s_cselect_b32 s2, -1, 0
	s_and_b32 s3, s13, 15
	s_delay_alu instid0(SALU_CYCLE_1) | instskip(SKIP_1) | instid1(SALU_CYCLE_1)
	s_cmp_lg_u32 s3, 0
	s_cselect_b32 s3, -1, 0
	s_or_b32 s2, s2, s3
	s_delay_alu instid0(SALU_CYCLE_1)
	s_and_b32 vcc_lo, exec_lo, s2
	s_cbranch_vccz .LBB20_14
; %bb.1:
	s_sub_i32 s2, 0, s10
	v_mov_b32_e32 v4, 0
	s_bfe_u32 s2, s2, 0x40001
	s_mov_b32 s3, exec_lo
	s_min_i32 s8, s2, s13
	s_delay_alu instid0(SALU_CYCLE_1)
	v_cmpx_gt_i32_e64 s8, v0
	s_cbranch_execz .LBB20_5
; %bb.2:
	v_dual_mov_b32 v4, 0 :: v_dual_lshlrev_b32 v1, 1, v0
	s_add_u32 s2, s4, s6
	s_addc_u32 s9, s5, s7
	v_mov_b32_e32 v3, v0
	s_delay_alu instid0(VALU_DEP_2) | instskip(NEXT) | instid1(VALU_DEP_1)
	v_add_co_u32 v1, s2, s2, v1
	v_add_co_ci_u32_e64 v2, null, s9, 0, s2
	s_mov_b32 s9, 0
	s_lshl_b32 s14, s12, 1
.LBB20_3:                               ; =>This Inner Loop Header: Depth=1
	global_load_u16 v5, v[1:2], off
	v_add_co_u32 v1, vcc_lo, v1, s14
	v_add_co_ci_u32_e32 v2, vcc_lo, 0, v2, vcc_lo
	s_waitcnt vmcnt(0)
	v_lshlrev_b32_e32 v5, 16, v5
	s_delay_alu instid0(VALU_DEP_1) | instskip(NEXT) | instid1(VALU_DEP_1)
	v_dual_fmac_f32 v4, v5, v5 :: v_dual_add_nc_u32 v3, s12, v3
	v_cmp_le_i32_e64 s2, s8, v3
	s_delay_alu instid0(VALU_DEP_1) | instskip(NEXT) | instid1(SALU_CYCLE_1)
	s_or_b32 s9, s2, s9
	s_and_not1_b32 exec_lo, exec_lo, s9
	s_cbranch_execnz .LBB20_3
; %bb.4:
	s_or_b32 exec_lo, exec_lo, s9
.LBB20_5:
	s_delay_alu instid0(SALU_CYCLE_1)
	s_or_b32 exec_lo, exec_lo, s3
	s_sub_i32 s3, s13, s8
	s_ashr_i32 s9, s8, 31
	s_ashr_i32 s2, s3, 31
	s_mov_b32 s16, exec_lo
	s_lshr_b32 s2, s2, 28
	s_delay_alu instid0(SALU_CYCLE_1) | instskip(NEXT) | instid1(SALU_CYCLE_1)
	s_add_i32 s2, s3, s2
	s_ashr_i32 s14, s2, 4
	s_delay_alu instid0(SALU_CYCLE_1)
	v_cmpx_gt_i32_e64 s14, v0
	s_cbranch_execz .LBB20_9
; %bb.6:
	v_lshlrev_b32_e32 v1, 5, v0
	s_lshl_b64 s[18:19], s[8:9], 1
	s_add_u32 s2, s4, s6
	s_addc_u32 s17, s5, s7
	s_add_u32 s2, s2, s18
	s_addc_u32 s17, s17, s19
	v_add_co_u32 v1, s2, s2, v1
	s_delay_alu instid0(VALU_DEP_1)
	v_add_co_ci_u32_e64 v2, null, s17, 0, s2
	v_mov_b32_e32 v3, v0
	s_mov_b32 s17, 0
	s_lshl_b32 s18, s12, 5
.LBB20_7:                               ; =>This Inner Loop Header: Depth=1
	s_clause 0x1
	global_load_b128 v[5:8], v[1:2], off
	global_load_b128 v[9:12], v[1:2], off offset:16
	v_add_co_u32 v1, vcc_lo, v1, s18
	v_add_co_ci_u32_e32 v2, vcc_lo, 0, v2, vcc_lo
	v_add_nc_u32_e32 v3, s12, v3
	s_delay_alu instid0(VALU_DEP_1) | instskip(NEXT) | instid1(VALU_DEP_1)
	v_cmp_le_i32_e64 s2, s14, v3
	s_or_b32 s17, s2, s17
	s_waitcnt vmcnt(1)
	v_lshlrev_b32_e32 v13, 16, v5
	v_and_b32_e32 v5, 0xffff0000, v5
	s_delay_alu instid0(VALU_DEP_2) | instskip(NEXT) | instid1(VALU_DEP_1)
	v_dual_fmac_f32 v4, v13, v13 :: v_dual_lshlrev_b32 v13, 16, v6
	v_dual_fmac_f32 v4, v5, v5 :: v_dual_and_b32 v5, 0xffff0000, v6
	v_lshlrev_b32_e32 v6, 16, v7
	s_delay_alu instid0(VALU_DEP_2) | instskip(NEXT) | instid1(VALU_DEP_1)
	v_fmac_f32_e32 v4, v13, v13
	v_dual_fmac_f32 v4, v5, v5 :: v_dual_and_b32 v5, 0xffff0000, v7
	s_delay_alu instid0(VALU_DEP_1) | instskip(SKIP_1) | instid1(VALU_DEP_2)
	v_fmac_f32_e32 v4, v6, v6
	v_lshlrev_b32_e32 v6, 16, v8
	v_dual_fmac_f32 v4, v5, v5 :: v_dual_and_b32 v5, 0xffff0000, v8
	s_delay_alu instid0(VALU_DEP_1) | instskip(SKIP_2) | instid1(VALU_DEP_2)
	v_fmac_f32_e32 v4, v6, v6
	s_waitcnt vmcnt(0)
	v_lshlrev_b32_e32 v6, 16, v9
	v_fmac_f32_e32 v4, v5, v5
	s_delay_alu instid0(VALU_DEP_1) | instskip(SKIP_1) | instid1(VALU_DEP_2)
	v_dual_fmac_f32 v4, v6, v6 :: v_dual_and_b32 v5, 0xffff0000, v9
	v_lshlrev_b32_e32 v6, 16, v10
	v_dual_fmac_f32 v4, v5, v5 :: v_dual_and_b32 v5, 0xffff0000, v10
	s_delay_alu instid0(VALU_DEP_1) | instskip(SKIP_1) | instid1(VALU_DEP_2)
	v_fmac_f32_e32 v4, v6, v6
	v_lshlrev_b32_e32 v6, 16, v11
	v_dual_fmac_f32 v4, v5, v5 :: v_dual_and_b32 v5, 0xffff0000, v11
	s_delay_alu instid0(VALU_DEP_1) | instskip(SKIP_1) | instid1(VALU_DEP_2)
	v_fmac_f32_e32 v4, v6, v6
	v_lshlrev_b32_e32 v6, 16, v12
	v_dual_fmac_f32 v4, v5, v5 :: v_dual_and_b32 v5, 0xffff0000, v12
	s_delay_alu instid0(VALU_DEP_1) | instskip(NEXT) | instid1(VALU_DEP_1)
	v_fmac_f32_e32 v4, v6, v6
	v_fmac_f32_e32 v4, v5, v5
	s_and_not1_b32 exec_lo, exec_lo, s17
	s_cbranch_execnz .LBB20_7
; %bb.8:
	s_or_b32 exec_lo, exec_lo, s17
.LBB20_9:
	s_delay_alu instid0(SALU_CYCLE_1) | instskip(SKIP_2) | instid1(VALU_DEP_1)
	s_or_b32 exec_lo, exec_lo, s16
	v_lshl_add_u32 v1, s14, 4, v0
	s_mov_b32 s14, exec_lo
	v_cmpx_gt_i32_e64 s3, v1
	s_cbranch_execz .LBB20_13
; %bb.10:
	v_ashrrev_i32_e32 v2, 31, v1
	s_lshl_b64 s[8:9], s[8:9], 1
	s_add_u32 s2, s4, s6
	s_addc_u32 s16, s5, s7
	s_add_u32 s2, s2, s8
	v_lshlrev_b64 v[2:3], 1, v[1:2]
	s_addc_u32 s8, s16, s9
	s_lshl_b32 s9, s12, 1
	s_delay_alu instid0(VALU_DEP_1) | instskip(NEXT) | instid1(VALU_DEP_2)
	v_add_co_u32 v2, vcc_lo, s2, v2
	v_add_co_ci_u32_e32 v3, vcc_lo, s8, v3, vcc_lo
	s_mov_b32 s8, 0
.LBB20_11:                              ; =>This Inner Loop Header: Depth=1
	global_load_u16 v5, v[2:3], off
	v_add_nc_u32_e32 v1, s12, v1
	v_add_co_u32 v2, vcc_lo, v2, s9
	v_add_co_ci_u32_e32 v3, vcc_lo, 0, v3, vcc_lo
	s_delay_alu instid0(VALU_DEP_3) | instskip(NEXT) | instid1(VALU_DEP_1)
	v_cmp_le_i32_e64 s2, s3, v1
	s_or_b32 s8, s2, s8
	s_waitcnt vmcnt(0)
	v_lshlrev_b32_e32 v5, 16, v5
	s_delay_alu instid0(VALU_DEP_1)
	v_fmac_f32_e32 v4, v5, v5
	s_and_not1_b32 exec_lo, exec_lo, s8
	s_cbranch_execnz .LBB20_11
; %bb.12:
	s_or_b32 exec_lo, exec_lo, s8
.LBB20_13:
	s_delay_alu instid0(SALU_CYCLE_1)
	s_or_b32 exec_lo, exec_lo, s14
	s_branch .LBB20_20
.LBB20_14:
                                        ; implicit-def: $vgpr4
	s_cbranch_execz .LBB20_20
; %bb.15:
	v_mov_b32_e32 v4, 0
	s_ashr_i32 s8, s13, 4
	s_mov_b32 s3, exec_lo
	v_cmpx_gt_i32_e64 s8, v0
	s_cbranch_execz .LBB20_19
; %bb.16:
	v_dual_mov_b32 v4, 0 :: v_dual_lshlrev_b32 v1, 5, v0
	s_add_u32 s2, s4, s6
	s_addc_u32 s4, s5, s7
	v_mov_b32_e32 v3, v0
	s_delay_alu instid0(VALU_DEP_2) | instskip(NEXT) | instid1(VALU_DEP_1)
	v_add_co_u32 v1, s2, s2, v1
	v_add_co_ci_u32_e64 v2, null, s4, 0, s2
	s_mov_b32 s4, 0
	s_lshl_b32 s5, s12, 5
.LBB20_17:                              ; =>This Inner Loop Header: Depth=1
	s_clause 0x1
	global_load_b128 v[5:8], v[1:2], off
	global_load_b128 v[9:12], v[1:2], off offset:16
	v_add_co_u32 v1, vcc_lo, v1, s5
	v_add_co_ci_u32_e32 v2, vcc_lo, 0, v2, vcc_lo
	v_add_nc_u32_e32 v3, s12, v3
	s_delay_alu instid0(VALU_DEP_1) | instskip(NEXT) | instid1(VALU_DEP_1)
	v_cmp_le_i32_e64 s2, s8, v3
	s_or_b32 s4, s2, s4
	s_waitcnt vmcnt(1)
	v_lshlrev_b32_e32 v13, 16, v5
	v_and_b32_e32 v5, 0xffff0000, v5
	s_delay_alu instid0(VALU_DEP_2) | instskip(NEXT) | instid1(VALU_DEP_1)
	v_dual_fmac_f32 v4, v13, v13 :: v_dual_lshlrev_b32 v13, 16, v6
	v_dual_fmac_f32 v4, v5, v5 :: v_dual_and_b32 v5, 0xffff0000, v6
	v_lshlrev_b32_e32 v6, 16, v7
	s_delay_alu instid0(VALU_DEP_2) | instskip(NEXT) | instid1(VALU_DEP_1)
	v_fmac_f32_e32 v4, v13, v13
	v_dual_fmac_f32 v4, v5, v5 :: v_dual_and_b32 v5, 0xffff0000, v7
	s_delay_alu instid0(VALU_DEP_1) | instskip(SKIP_1) | instid1(VALU_DEP_2)
	v_fmac_f32_e32 v4, v6, v6
	v_lshlrev_b32_e32 v6, 16, v8
	v_dual_fmac_f32 v4, v5, v5 :: v_dual_and_b32 v5, 0xffff0000, v8
	s_delay_alu instid0(VALU_DEP_1) | instskip(SKIP_2) | instid1(VALU_DEP_2)
	v_fmac_f32_e32 v4, v6, v6
	s_waitcnt vmcnt(0)
	v_lshlrev_b32_e32 v6, 16, v9
	v_fmac_f32_e32 v4, v5, v5
	s_delay_alu instid0(VALU_DEP_1) | instskip(SKIP_1) | instid1(VALU_DEP_2)
	v_dual_fmac_f32 v4, v6, v6 :: v_dual_and_b32 v5, 0xffff0000, v9
	v_lshlrev_b32_e32 v6, 16, v10
	v_dual_fmac_f32 v4, v5, v5 :: v_dual_and_b32 v5, 0xffff0000, v10
	s_delay_alu instid0(VALU_DEP_1) | instskip(SKIP_1) | instid1(VALU_DEP_2)
	v_fmac_f32_e32 v4, v6, v6
	v_lshlrev_b32_e32 v6, 16, v11
	v_dual_fmac_f32 v4, v5, v5 :: v_dual_and_b32 v5, 0xffff0000, v11
	s_delay_alu instid0(VALU_DEP_1) | instskip(SKIP_1) | instid1(VALU_DEP_2)
	v_fmac_f32_e32 v4, v6, v6
	v_lshlrev_b32_e32 v6, 16, v12
	v_dual_fmac_f32 v4, v5, v5 :: v_dual_and_b32 v5, 0xffff0000, v12
	s_delay_alu instid0(VALU_DEP_1) | instskip(NEXT) | instid1(VALU_DEP_1)
	v_fmac_f32_e32 v4, v6, v6
	v_fmac_f32_e32 v4, v5, v5
	s_and_not1_b32 exec_lo, exec_lo, s4
	s_cbranch_execnz .LBB20_17
; %bb.18:
	s_or_b32 exec_lo, exec_lo, s4
.LBB20_19:
	s_delay_alu instid0(SALU_CYCLE_1)
	s_or_b32 exec_lo, exec_lo, s3
.LBB20_20:
	v_mbcnt_lo_u32_b32 v1, -1, 0
	v_and_b32_e32 v3, 0x3e0, v0
	s_mov_b32 s2, exec_lo
	s_delay_alu instid0(VALU_DEP_2) | instskip(NEXT) | instid1(VALU_DEP_2)
	v_cmp_ne_u32_e32 vcc_lo, 31, v1
	v_sub_nc_u32_e64 v12, s12, v3 clamp
	v_add_nc_u32_e32 v3, 1, v1
	v_add_co_ci_u32_e32 v2, vcc_lo, 0, v1, vcc_lo
	v_cmp_gt_u32_e32 vcc_lo, 30, v1
	s_delay_alu instid0(VALU_DEP_2)
	v_lshlrev_b32_e32 v2, 2, v2
	v_cndmask_b32_e64 v6, 0, 1, vcc_lo
	v_cmp_lt_u32_e32 vcc_lo, v3, v12
	ds_bpermute_b32 v5, v2, v4
	s_waitcnt lgkmcnt(0)
	v_dual_add_f32 v7, v4, v5 :: v_dual_lshlrev_b32 v6, 1, v6
	s_delay_alu instid0(VALU_DEP_1) | instskip(NEXT) | instid1(VALU_DEP_2)
	v_cndmask_b32_e32 v7, v4, v7, vcc_lo
	v_add_lshl_u32 v5, v6, v1, 2
	v_cmp_gt_u32_e32 vcc_lo, 28, v1
	ds_bpermute_b32 v6, v5, v7
	v_cndmask_b32_e64 v4, 0, 1, vcc_lo
	s_delay_alu instid0(VALU_DEP_1) | instskip(SKIP_1) | instid1(VALU_DEP_1)
	v_lshlrev_b32_e32 v8, 2, v4
	v_add_nc_u32_e32 v4, 2, v1
	v_cmp_lt_u32_e32 vcc_lo, v4, v12
	s_waitcnt lgkmcnt(0)
	v_add_f32_e32 v9, v7, v6
	v_add_lshl_u32 v6, v8, v1, 2
	s_delay_alu instid0(VALU_DEP_2) | instskip(SKIP_2) | instid1(VALU_DEP_1)
	v_cndmask_b32_e32 v9, v7, v9, vcc_lo
	v_cmp_gt_u32_e32 vcc_lo, 24, v1
	v_cndmask_b32_e64 v7, 0, 1, vcc_lo
	v_lshlrev_b32_e32 v10, 3, v7
	ds_bpermute_b32 v8, v6, v9
	v_add_nc_u32_e32 v7, 4, v1
	s_delay_alu instid0(VALU_DEP_1) | instskip(SKIP_3) | instid1(VALU_DEP_2)
	v_cmp_lt_u32_e32 vcc_lo, v7, v12
	s_waitcnt lgkmcnt(0)
	v_add_f32_e32 v11, v9, v8
	v_add_lshl_u32 v8, v10, v1, 2
	v_cndmask_b32_e32 v11, v9, v11, vcc_lo
	v_cmp_gt_u32_e32 vcc_lo, 16, v1
	ds_bpermute_b32 v10, v8, v11
	v_cndmask_b32_e64 v9, 0, 1, vcc_lo
	s_delay_alu instid0(VALU_DEP_1) | instskip(SKIP_1) | instid1(VALU_DEP_1)
	v_lshlrev_b32_e32 v13, 4, v9
	v_add_nc_u32_e32 v9, 8, v1
	v_cmp_lt_u32_e32 vcc_lo, v9, v12
	s_waitcnt lgkmcnt(0)
	v_add_f32_e32 v14, v11, v10
	v_add_lshl_u32 v10, v13, v1, 2
	s_delay_alu instid0(VALU_DEP_2)
	v_cndmask_b32_e32 v13, v11, v14, vcc_lo
	v_add_nc_u32_e32 v11, 16, v1
	ds_bpermute_b32 v14, v10, v13
	v_cmp_lt_u32_e32 vcc_lo, v11, v12
	s_waitcnt lgkmcnt(0)
	v_add_f32_e32 v14, v13, v14
	s_delay_alu instid0(VALU_DEP_1)
	v_cndmask_b32_e32 v12, v13, v14, vcc_lo
	v_cmpx_eq_u32_e32 0, v1
	s_cbranch_execz .LBB20_22
; %bb.21:
	v_lshrrev_b32_e32 v13, 3, v0
	s_delay_alu instid0(VALU_DEP_1)
	v_and_b32_e32 v13, 0x7c, v13
	ds_store_b32 v13, v12
.LBB20_22:
	s_or_b32 exec_lo, exec_lo, s2
	s_delay_alu instid0(SALU_CYCLE_1)
	s_mov_b32 s2, exec_lo
	s_waitcnt lgkmcnt(0)
	s_barrier
	buffer_gl0_inv
	v_cmpx_gt_u32_e32 32, v0
	s_cbranch_execz .LBB20_24
; %bb.23:
	v_lshlrev_b32_e32 v1, 2, v1
	s_add_i32 s3, s12, 31
	s_delay_alu instid0(SALU_CYCLE_1) | instskip(NEXT) | instid1(SALU_CYCLE_1)
	s_lshr_b32 s3, s3, 5
	v_cmp_gt_u32_e32 vcc_lo, s3, v3
	ds_load_b32 v1, v1
	s_waitcnt lgkmcnt(0)
	ds_bpermute_b32 v2, v2, v1
	s_waitcnt lgkmcnt(0)
	v_add_f32_e32 v2, v1, v2
	s_delay_alu instid0(VALU_DEP_1) | instskip(SKIP_4) | instid1(VALU_DEP_1)
	v_cndmask_b32_e32 v1, v1, v2, vcc_lo
	v_cmp_gt_u32_e32 vcc_lo, s3, v4
	ds_bpermute_b32 v2, v5, v1
	s_waitcnt lgkmcnt(0)
	v_add_f32_e32 v2, v1, v2
	v_cndmask_b32_e32 v1, v1, v2, vcc_lo
	v_cmp_gt_u32_e32 vcc_lo, s3, v7
	ds_bpermute_b32 v2, v6, v1
	s_waitcnt lgkmcnt(0)
	v_add_f32_e32 v2, v1, v2
	s_delay_alu instid0(VALU_DEP_1) | instskip(SKIP_4) | instid1(VALU_DEP_1)
	v_cndmask_b32_e32 v1, v1, v2, vcc_lo
	v_cmp_gt_u32_e32 vcc_lo, s3, v9
	ds_bpermute_b32 v2, v8, v1
	s_waitcnt lgkmcnt(0)
	v_add_f32_e32 v2, v1, v2
	v_cndmask_b32_e32 v1, v1, v2, vcc_lo
	v_cmp_gt_u32_e32 vcc_lo, s3, v11
	ds_bpermute_b32 v2, v10, v1
	s_waitcnt lgkmcnt(0)
	v_add_f32_e32 v2, v1, v2
	s_delay_alu instid0(VALU_DEP_1)
	v_cndmask_b32_e32 v12, v1, v2, vcc_lo
.LBB20_24:
	s_or_b32 exec_lo, exec_lo, s2
	s_delay_alu instid0(SALU_CYCLE_1)
	s_mov_b32 s2, exec_lo
	v_cmpx_eq_u32_e32 0, v0
	s_cbranch_execz .LBB20_26
; %bb.25:
	v_cvt_f32_i32_e32 v1, s13
	s_load_b32 s3, s[0:1], 0x28
	s_delay_alu instid0(VALU_DEP_1) | instskip(SKIP_1) | instid1(VALU_DEP_2)
	v_div_scale_f32 v2, null, v1, v1, v12
	v_div_scale_f32 v5, vcc_lo, v12, v1, v12
	v_rcp_f32_e32 v3, v2
	s_waitcnt_depctr 0xfff
	v_fma_f32 v4, -v2, v3, 1.0
	s_delay_alu instid0(VALU_DEP_1) | instskip(NEXT) | instid1(VALU_DEP_1)
	v_fmac_f32_e32 v3, v4, v3
	v_mul_f32_e32 v4, v5, v3
	s_delay_alu instid0(VALU_DEP_1) | instskip(NEXT) | instid1(VALU_DEP_1)
	v_fma_f32 v6, -v2, v4, v5
	v_fmac_f32_e32 v4, v6, v3
	s_delay_alu instid0(VALU_DEP_1) | instskip(NEXT) | instid1(VALU_DEP_1)
	v_fma_f32 v2, -v2, v4, v5
	v_div_fmas_f32 v2, v2, v3, v4
	s_delay_alu instid0(VALU_DEP_1) | instskip(SKIP_1) | instid1(VALU_DEP_1)
	v_div_fixup_f32 v1, v2, v1, v12
	s_waitcnt lgkmcnt(0)
	v_add_f32_e32 v1, s3, v1
	s_delay_alu instid0(VALU_DEP_1) | instskip(SKIP_1) | instid1(VALU_DEP_2)
	v_mul_f32_e32 v2, 0x4b800000, v1
	v_cmp_gt_f32_e32 vcc_lo, 0x800000, v1
	v_cndmask_b32_e32 v1, v1, v2, vcc_lo
	s_delay_alu instid0(VALU_DEP_1) | instskip(SKIP_2) | instid1(VALU_DEP_1)
	v_rsq_f32_e32 v1, v1
	s_waitcnt_depctr 0xfff
	v_mul_f32_e32 v2, 0x45800000, v1
	v_dual_cndmask_b32 v1, v1, v2 :: v_dual_mov_b32 v2, 0
	ds_store_b32 v2, v1 offset:128
.LBB20_26:
	s_or_b32 exec_lo, exec_lo, s2
	s_ashr_i32 s2, s13, 31
	s_waitcnt lgkmcnt(0)
	s_lshr_b32 s2, s2, 28
	s_barrier
	s_add_i32 s2, s13, s2
	buffer_gl0_inv
	s_ashr_i32 s8, s2, 4
	s_mov_b32 s2, exec_lo
	v_cmpx_gt_i32_e64 s8, v0
	s_cbranch_execz .LBB20_285
; %bb.27:
	s_clause 0x1
	s_load_b128 s[4:7], s[0:1], 0x18
	s_load_b64 s[2:3], s[0:1], 0x0
	s_mul_i32 s15, s15, s13
	s_lshl_b32 s9, s12, 5
	v_lshl_add_u32 v22, v0, 4, s15
	s_mov_b32 s13, 0x43e00000
	v_mov_b32_e32 v18, 0
	v_lshlrev_b32_e32 v24, 5, v0
	ds_load_b32 v21, v18 offset:128
	s_waitcnt lgkmcnt(0)
	s_load_b32 s7, s[6:7], 0x0
	s_lshl_b32 s6, s12, 4
	s_waitcnt lgkmcnt(0)
	v_div_scale_f32 v1, null, s7, s7, 1.0
	v_div_scale_f32 v4, vcc_lo, 1.0, s7, 1.0
	s_delay_alu instid0(VALU_DEP_2) | instskip(SKIP_2) | instid1(VALU_DEP_1)
	v_rcp_f32_e32 v2, v1
	s_waitcnt_depctr 0xfff
	v_fma_f32 v3, -v1, v2, 1.0
	v_fmac_f32_e32 v2, v3, v2
	s_delay_alu instid0(VALU_DEP_1) | instskip(NEXT) | instid1(VALU_DEP_1)
	v_mul_f32_e32 v3, v4, v2
	v_fma_f32 v5, -v1, v3, v4
	s_delay_alu instid0(VALU_DEP_1) | instskip(NEXT) | instid1(VALU_DEP_1)
	v_fmac_f32_e32 v3, v5, v2
	v_fma_f32 v1, -v1, v3, v4
	s_delay_alu instid0(VALU_DEP_1) | instskip(NEXT) | instid1(VALU_DEP_1)
	v_div_fmas_f32 v1, v1, v2, v3
	v_div_fixup_f32 v23, v1, s7, 1.0
	s_mov_b32 s7, 0
	s_branch .LBB20_29
.LBB20_28:                              ;   in Loop: Header=BB20_29 Depth=1
	s_or_b32 exec_lo, exec_lo, s0
	v_add_nc_u32_e32 v0, s12, v0
	s_add_u32 s4, s4, s9
	v_add_nc_u32_e32 v1, 15, v22
	v_add_nc_u32_e32 v22, s6, v22
	s_addc_u32 s5, s5, 0
	v_cmp_le_i32_e32 vcc_lo, s8, v0
	s_add_u32 s10, s10, s9
	s_addc_u32 s11, s11, 0
	global_store_b8 v1, v2, s[2:3]
	s_or_b32 s7, vcc_lo, s7
	s_delay_alu instid0(SALU_CYCLE_1)
	s_and_not1_b32 exec_lo, exec_lo, s7
	s_cbranch_execz .LBB20_285
.LBB20_29:                              ; =>This Inner Loop Header: Depth=1
	v_add_co_u32 v1, s0, s10, v24
	s_delay_alu instid0(VALU_DEP_1) | instskip(SKIP_1) | instid1(VALU_DEP_1)
	v_add_co_ci_u32_e64 v2, null, s11, 0, s0
	v_add_co_u32 v3, s0, s4, v24
	v_add_co_ci_u32_e64 v4, null, s5, 0, s0
	global_load_b128 v[13:16], v[1:2], off
	global_load_b128 v[9:12], v[3:4], off
	global_load_b128 v[5:8], v[1:2], off offset:16
	global_load_b128 v[1:4], v[3:4], off offset:16
	s_mov_b32 s0, exec_lo
	s_waitcnt vmcnt(3)
	v_dual_mov_b32 v28, v18 :: v_dual_lshlrev_b32 v17, 16, v13
	s_delay_alu instid0(VALU_DEP_1) | instskip(NEXT) | instid1(VALU_DEP_1)
	v_mul_f32_e32 v17, v21, v17
	v_bfe_u32 v19, v17, 16, 1
	v_cmp_o_f32_e32 vcc_lo, v17, v17
	s_delay_alu instid0(VALU_DEP_2) | instskip(NEXT) | instid1(VALU_DEP_1)
	v_add3_u32 v19, v17, v19, 0x7fff
	v_and_b32_e32 v19, 0xffff0000, v19
	s_delay_alu instid0(VALU_DEP_1) | instskip(SKIP_2) | instid1(VALU_DEP_1)
	v_cndmask_b32_e32 v17, 0x7fc00000, v19, vcc_lo
	s_waitcnt vmcnt(2)
	v_lshlrev_b32_e32 v19, 16, v9
	v_mul_f32_e32 v17, v17, v19
	s_delay_alu instid0(VALU_DEP_1) | instskip(SKIP_1) | instid1(VALU_DEP_2)
	v_bfe_u32 v19, v17, 16, 1
	v_cmp_o_f32_e32 vcc_lo, v17, v17
	v_add3_u32 v19, v17, v19, 0x7fff
	s_delay_alu instid0(VALU_DEP_1) | instskip(NEXT) | instid1(VALU_DEP_1)
	v_and_b32_e32 v19, 0xffff0000, v19
	v_cndmask_b32_e32 v17, 0x7fc00000, v19, vcc_lo
	s_delay_alu instid0(VALU_DEP_1) | instskip(NEXT) | instid1(VALU_DEP_1)
	v_mul_f32_e32 v17, v23, v17
	v_minmax_f32 v19, v17, s13, 0xc3e00000
	s_delay_alu instid0(VALU_DEP_1) | instskip(SKIP_2) | instid1(VALU_DEP_3)
	v_lshrrev_b32_e32 v26, 24, v19
	v_and_b32_e32 v27, 0x7f800000, v19
	v_and_b32_e32 v17, 0x7fffff, v19
	;; [unrolled: 1-line block ×3, first 2 shown]
	s_delay_alu instid0(VALU_DEP_1) | instskip(NEXT) | instid1(VALU_DEP_4)
	v_or_b32_e32 v20, 0x7e, v25
	v_cmpx_ne_u64_e32 0x7f800000, v[27:28]
	s_xor_b32 s14, exec_lo, s0
	s_cbranch_execz .LBB20_43
; %bb.30:                               ;   in Loop: Header=BB20_29 Depth=1
	v_dual_mov_b32 v27, v18 :: v_dual_and_b32 v26, 0x7fffffff, v19
	s_mov_b32 s0, exec_lo
	s_delay_alu instid0(VALU_DEP_1)
	v_cmpx_gt_u64_e32 0x43e00001, v[26:27]
	s_xor_b32 s15, exec_lo, s0
	s_cbranch_execz .LBB20_42
; %bb.31:                               ;   in Loop: Header=BB20_29 Depth=1
	v_mov_b32_e32 v20, 0
	s_mov_b32 s16, exec_lo
	v_cmpx_ne_u32_e32 0, v19
	s_cbranch_execz .LBB20_41
; %bb.32:                               ;   in Loop: Header=BB20_29 Depth=1
	v_bfe_u32 v30, v19, 23, 8
	s_delay_alu instid0(VALU_DEP_1) | instskip(SKIP_2) | instid1(VALU_DEP_3)
	v_sub_nc_u32_e64 v19, 0x79, v30 clamp
	v_cmp_eq_u32_e32 vcc_lo, 0, v30
	v_add_nc_u32_e32 v30, 0xffffff88, v30
	v_cndmask_b32_e64 v31, v19, 0x78, vcc_lo
	v_or_b32_e32 v19, 0x800000, v17
	s_delay_alu instid0(VALU_DEP_1) | instskip(SKIP_1) | instid1(VALU_DEP_2)
	v_dual_cndmask_b32 v17, v19, v17 :: v_dual_add_nc_u32 v20, 20, v31
	v_add_nc_u32_e32 v26, 19, v31
	v_lshlrev_b64 v[19:20], v20, -1
	s_delay_alu instid0(VALU_DEP_3) | instskip(NEXT) | instid1(VALU_DEP_2)
	v_lshrrev_b64 v[28:29], v31, v[17:18]
	v_not_b32_e32 v27, v20
	s_delay_alu instid0(VALU_DEP_3) | instskip(SKIP_1) | instid1(VALU_DEP_3)
	v_not_b32_e32 v32, v19
	v_lshlrev_b64 v[19:20], v26, 1
	v_and_b32_e32 v27, 0, v27
	s_delay_alu instid0(VALU_DEP_3) | instskip(SKIP_1) | instid1(VALU_DEP_2)
	v_and_b32_e32 v26, v17, v32
	v_and_b32_e32 v17, 0x100000, v28
	v_cmp_eq_u64_e64 s0, v[26:27], v[19:20]
	s_delay_alu instid0(VALU_DEP_2) | instskip(SKIP_2) | instid1(VALU_DEP_3)
	v_cmp_eq_u64_e64 s1, 0, v[17:18]
	v_cndmask_b32_e64 v17, v30, 0xffffff89, vcc_lo
	v_lshrrev_b32_e32 v19, 23, v28
	s_and_b32 vcc_lo, s1, s0
	s_delay_alu instid0(VALU_DEP_1) | instskip(SKIP_2) | instid1(VALU_DEP_2)
	v_add3_u32 v26, v17, v31, v19
	v_subrev_co_ci_u32_e32 v20, vcc_lo, 0, v28, vcc_lo
	s_mov_b32 s0, exec_lo
	v_add_nc_u32_e32 v27, -1, v26
	s_delay_alu instid0(VALU_DEP_2) | instskip(NEXT) | instid1(VALU_DEP_1)
	v_and_b32_e32 v17, 0xfffff, v20
	v_add_co_u32 v19, vcc_lo, v17, v28
	v_add_co_ci_u32_e32 v20, vcc_lo, 0, v29, vcc_lo
                                        ; implicit-def: $vgpr17
	s_delay_alu instid0(VALU_DEP_4)
	v_cmpx_ne_u32_e32 0, v27
	s_xor_b32 s0, exec_lo, s0
; %bb.33:                               ;   in Loop: Header=BB20_29 Depth=1
	s_delay_alu instid0(VALU_DEP_3) | instskip(SKIP_1) | instid1(VALU_DEP_2)
	v_and_b32_e32 v17, 0x1000000, v19
	v_bfe_u32 v28, v19, 24, 1
	v_cmp_eq_u64_e32 vcc_lo, 0, v[17:18]
	s_delay_alu instid0(VALU_DEP_2)
	v_lshrrev_b64 v[19:20], v28, v[19:20]
	v_cndmask_b32_e32 v17, v26, v27, vcc_lo
; %bb.34:                               ;   in Loop: Header=BB20_29 Depth=1
	s_and_not1_saveexec_b32 s0, s0
; %bb.35:                               ;   in Loop: Header=BB20_29 Depth=1
	s_delay_alu instid0(VALU_DEP_2)
	v_bfe_u32 v17, v19, 23, 1
; %bb.36:                               ;   in Loop: Header=BB20_29 Depth=1
	s_or_b32 exec_lo, exec_lo, s0
	s_delay_alu instid0(VALU_DEP_3) | instskip(NEXT) | instid1(VALU_DEP_2)
	v_lshrrev_b64 v[19:20], 20, v[19:20]
	v_cmp_gt_i32_e32 vcc_lo, 16, v17
	v_cmp_ne_u32_e64 s0, 0, v17
	s_delay_alu instid0(VALU_DEP_3) | instskip(NEXT) | instid1(VALU_DEP_1)
	v_dual_cndmask_b32 v20, 0, v20 :: v_dual_cndmask_b32 v19, 7, v19
	v_cmp_ne_u64_e32 vcc_lo, 0, v[19:20]
                                        ; implicit-def: $vgpr20
	s_delay_alu instid0(VALU_DEP_3) | instskip(NEXT) | instid1(SALU_CYCLE_1)
	s_or_b32 s0, s0, vcc_lo
	s_and_saveexec_b32 s1, s0
	s_delay_alu instid0(SALU_CYCLE_1)
	s_xor_b32 s0, exec_lo, s1
; %bb.37:                               ;   in Loop: Header=BB20_29 Depth=1
	v_min_i32_e32 v17, 15, v17
	s_delay_alu instid0(VALU_DEP_1) | instskip(NEXT) | instid1(VALU_DEP_1)
	v_lshl_or_b32 v17, v17, 3, v25
                                        ; implicit-def: $vgpr25
	v_and_or_b32 v20, v19, 7, v17
; %bb.38:                               ;   in Loop: Header=BB20_29 Depth=1
	s_and_not1_saveexec_b32 s0, s0
; %bb.39:                               ;   in Loop: Header=BB20_29 Depth=1
	v_mov_b32_e32 v20, v25
; %bb.40:                               ;   in Loop: Header=BB20_29 Depth=1
	s_or_b32 exec_lo, exec_lo, s0
.LBB20_41:                              ;   in Loop: Header=BB20_29 Depth=1
	s_delay_alu instid0(SALU_CYCLE_1)
	s_or_b32 exec_lo, exec_lo, s16
.LBB20_42:                              ;   in Loop: Header=BB20_29 Depth=1
	s_and_not1_saveexec_b32 s0, s15
	s_delay_alu instid0(SALU_CYCLE_1)
	s_or_b32 exec_lo, exec_lo, s0
                                        ; implicit-def: $vgpr26
.LBB20_43:                              ;   in Loop: Header=BB20_29 Depth=1
	s_and_not1_saveexec_b32 s0, s14
; %bb.44:                               ;   in Loop: Header=BB20_29 Depth=1
	v_cmp_eq_u64_e32 vcc_lo, 0, v[17:18]
	v_or_b32_e32 v19, 0x7f, v26
	s_delay_alu instid0(VALU_DEP_1)
	v_cndmask_b32_e32 v20, v19, v20, vcc_lo
; %bb.45:                               ;   in Loop: Header=BB20_29 Depth=1
	s_or_b32 exec_lo, exec_lo, s0
	v_and_b32_e32 v13, 0xffff0000, v13
	v_and_b32_e32 v9, 0xffff0000, v9
	v_mov_b32_e32 v27, v18
	global_store_b8 v22, v20, s[2:3]
	s_mov_b32 s0, exec_lo
	v_mul_f32_e32 v13, v21, v13
	s_delay_alu instid0(VALU_DEP_1) | instskip(SKIP_1) | instid1(VALU_DEP_2)
	v_bfe_u32 v17, v13, 16, 1
	v_cmp_o_f32_e32 vcc_lo, v13, v13
	v_add3_u32 v17, v13, v17, 0x7fff
	s_delay_alu instid0(VALU_DEP_1) | instskip(NEXT) | instid1(VALU_DEP_1)
	v_and_b32_e32 v17, 0xffff0000, v17
	v_cndmask_b32_e32 v13, 0x7fc00000, v17, vcc_lo
	s_delay_alu instid0(VALU_DEP_1) | instskip(NEXT) | instid1(VALU_DEP_1)
	v_mul_f32_e32 v9, v13, v9
	v_bfe_u32 v13, v9, 16, 1
	v_cmp_o_f32_e32 vcc_lo, v9, v9
	s_delay_alu instid0(VALU_DEP_2) | instskip(NEXT) | instid1(VALU_DEP_1)
	v_add3_u32 v13, v9, v13, 0x7fff
	v_and_b32_e32 v13, 0xffff0000, v13
	s_delay_alu instid0(VALU_DEP_1) | instskip(NEXT) | instid1(VALU_DEP_1)
	v_cndmask_b32_e32 v9, 0x7fc00000, v13, vcc_lo
	v_mul_f32_e32 v9, v23, v9
	s_delay_alu instid0(VALU_DEP_1) | instskip(NEXT) | instid1(VALU_DEP_1)
	v_minmax_f32 v19, v9, s13, 0xc3e00000
	v_and_b32_e32 v26, 0x7f800000, v19
	v_lshrrev_b32_e32 v25, 24, v19
	v_and_b32_e32 v17, 0x7fffff, v19
	s_delay_alu instid0(VALU_DEP_2) | instskip(NEXT) | instid1(VALU_DEP_1)
	v_and_b32_e32 v9, 0x80, v25
	v_or_b32_e32 v13, 0x7e, v9
	v_cmpx_ne_u64_e32 0x7f800000, v[26:27]
	s_xor_b32 s14, exec_lo, s0
	s_cbranch_execz .LBB20_59
; %bb.46:                               ;   in Loop: Header=BB20_29 Depth=1
	v_dual_mov_b32 v26, v18 :: v_dual_and_b32 v25, 0x7fffffff, v19
	s_mov_b32 s0, exec_lo
	s_delay_alu instid0(VALU_DEP_1)
	v_cmpx_gt_u64_e32 0x43e00001, v[25:26]
	s_xor_b32 s15, exec_lo, s0
	s_cbranch_execz .LBB20_58
; %bb.47:                               ;   in Loop: Header=BB20_29 Depth=1
	v_mov_b32_e32 v13, 0
	s_mov_b32 s16, exec_lo
	v_cmpx_ne_u32_e32 0, v19
	s_cbranch_execz .LBB20_57
; %bb.48:                               ;   in Loop: Header=BB20_29 Depth=1
	v_bfe_u32 v13, v19, 23, 8
	s_delay_alu instid0(VALU_DEP_1) | instskip(SKIP_2) | instid1(VALU_DEP_3)
	v_sub_nc_u32_e64 v19, 0x79, v13 clamp
	v_cmp_eq_u32_e32 vcc_lo, 0, v13
	v_add_nc_u32_e32 v13, 0xffffff88, v13
	v_cndmask_b32_e64 v25, v19, 0x78, vcc_lo
	v_or_b32_e32 v19, 0x800000, v17
	s_delay_alu instid0(VALU_DEP_3) | instskip(NEXT) | instid1(VALU_DEP_3)
	v_cndmask_b32_e64 v13, v13, 0xffffff89, vcc_lo
	v_add_nc_u32_e32 v20, 20, v25
	s_delay_alu instid0(VALU_DEP_3) | instskip(SKIP_1) | instid1(VALU_DEP_3)
	v_cndmask_b32_e32 v17, v19, v17, vcc_lo
	v_add_nc_u32_e32 v28, 19, v25
	v_lshlrev_b64 v[19:20], v20, -1
	s_delay_alu instid0(VALU_DEP_3) | instskip(NEXT) | instid1(VALU_DEP_2)
	v_lshrrev_b64 v[26:27], v25, v[17:18]
	v_not_b32_e32 v29, v20
	s_delay_alu instid0(VALU_DEP_3) | instskip(SKIP_1) | instid1(VALU_DEP_3)
	v_not_b32_e32 v30, v19
	v_lshlrev_b64 v[19:20], v28, 1
	v_and_b32_e32 v29, 0, v29
	s_delay_alu instid0(VALU_DEP_3) | instskip(SKIP_1) | instid1(VALU_DEP_2)
	v_and_b32_e32 v28, v17, v30
	v_and_b32_e32 v17, 0x100000, v26
	v_cmp_eq_u64_e64 s0, v[28:29], v[19:20]
	s_delay_alu instid0(VALU_DEP_2) | instskip(SKIP_1) | instid1(VALU_DEP_1)
	v_cmp_eq_u64_e64 s1, 0, v[17:18]
	v_lshrrev_b32_e32 v17, 23, v26
	v_add3_u32 v13, v13, v25, v17
	s_delay_alu instid0(VALU_DEP_3) | instskip(SKIP_2) | instid1(VALU_DEP_2)
	s_and_b32 vcc_lo, s1, s0
	s_mov_b32 s0, exec_lo
	v_subrev_co_ci_u32_e32 v19, vcc_lo, 0, v26, vcc_lo
	v_add_nc_u32_e32 v25, -1, v13
	s_delay_alu instid0(VALU_DEP_2) | instskip(NEXT) | instid1(VALU_DEP_1)
	v_and_b32_e32 v17, 0xfffff, v19
	v_add_co_u32 v19, vcc_lo, v17, v26
	v_add_co_ci_u32_e32 v20, vcc_lo, 0, v27, vcc_lo
                                        ; implicit-def: $vgpr17
	s_delay_alu instid0(VALU_DEP_4)
	v_cmpx_ne_u32_e32 0, v25
	s_xor_b32 s0, exec_lo, s0
; %bb.49:                               ;   in Loop: Header=BB20_29 Depth=1
	s_delay_alu instid0(VALU_DEP_3) | instskip(SKIP_1) | instid1(VALU_DEP_2)
	v_and_b32_e32 v17, 0x1000000, v19
	v_bfe_u32 v26, v19, 24, 1
	v_cmp_eq_u64_e32 vcc_lo, 0, v[17:18]
	s_delay_alu instid0(VALU_DEP_2)
	v_lshrrev_b64 v[19:20], v26, v[19:20]
	v_cndmask_b32_e32 v17, v13, v25, vcc_lo
; %bb.50:                               ;   in Loop: Header=BB20_29 Depth=1
	s_and_not1_saveexec_b32 s0, s0
; %bb.51:                               ;   in Loop: Header=BB20_29 Depth=1
	s_delay_alu instid0(VALU_DEP_2)
	v_bfe_u32 v17, v19, 23, 1
; %bb.52:                               ;   in Loop: Header=BB20_29 Depth=1
	s_or_b32 exec_lo, exec_lo, s0
	s_delay_alu instid0(VALU_DEP_3) | instskip(NEXT) | instid1(VALU_DEP_2)
	v_lshrrev_b64 v[19:20], 20, v[19:20]
	v_cmp_gt_i32_e32 vcc_lo, 16, v17
	v_cmp_ne_u32_e64 s0, 0, v17
                                        ; implicit-def: $vgpr13
	s_delay_alu instid0(VALU_DEP_3) | instskip(NEXT) | instid1(VALU_DEP_1)
	v_dual_cndmask_b32 v20, 0, v20 :: v_dual_cndmask_b32 v19, 7, v19
	v_cmp_ne_u64_e32 vcc_lo, 0, v[19:20]
	s_delay_alu instid0(VALU_DEP_3) | instskip(NEXT) | instid1(SALU_CYCLE_1)
	s_or_b32 s0, s0, vcc_lo
	s_and_saveexec_b32 s1, s0
	s_delay_alu instid0(SALU_CYCLE_1)
	s_xor_b32 s0, exec_lo, s1
; %bb.53:                               ;   in Loop: Header=BB20_29 Depth=1
	v_min_i32_e32 v13, 15, v17
	s_delay_alu instid0(VALU_DEP_1) | instskip(NEXT) | instid1(VALU_DEP_1)
	v_lshl_or_b32 v9, v13, 3, v9
	v_and_or_b32 v13, v19, 7, v9
                                        ; implicit-def: $vgpr9
; %bb.54:                               ;   in Loop: Header=BB20_29 Depth=1
	s_and_not1_saveexec_b32 s0, s0
; %bb.55:                               ;   in Loop: Header=BB20_29 Depth=1
	v_mov_b32_e32 v13, v9
; %bb.56:                               ;   in Loop: Header=BB20_29 Depth=1
	s_or_b32 exec_lo, exec_lo, s0
.LBB20_57:                              ;   in Loop: Header=BB20_29 Depth=1
	s_delay_alu instid0(SALU_CYCLE_1)
	s_or_b32 exec_lo, exec_lo, s16
.LBB20_58:                              ;   in Loop: Header=BB20_29 Depth=1
	s_and_not1_saveexec_b32 s0, s15
	s_delay_alu instid0(SALU_CYCLE_1)
	s_or_b32 exec_lo, exec_lo, s0
                                        ; implicit-def: $vgpr25
.LBB20_59:                              ;   in Loop: Header=BB20_29 Depth=1
	s_and_not1_saveexec_b32 s0, s14
; %bb.60:                               ;   in Loop: Header=BB20_29 Depth=1
	v_cmp_eq_u64_e32 vcc_lo, 0, v[17:18]
	v_or_b32_e32 v9, 0x7f, v25
	s_delay_alu instid0(VALU_DEP_1)
	v_cndmask_b32_e32 v13, v9, v13, vcc_lo
; %bb.61:                               ;   in Loop: Header=BB20_29 Depth=1
	s_or_b32 exec_lo, exec_lo, s0
	v_lshlrev_b32_e32 v9, 16, v14
	v_mov_b32_e32 v27, v18
	s_mov_b32 s0, exec_lo
	s_delay_alu instid0(VALU_DEP_2) | instskip(SKIP_3) | instid1(VALU_DEP_2)
	v_dual_mul_f32 v9, v21, v9 :: v_dual_add_nc_u32 v28, 1, v22
	global_store_b8 v28, v13, s[2:3]
	v_bfe_u32 v17, v9, 16, 1
	v_cmp_o_f32_e32 vcc_lo, v9, v9
	v_add3_u32 v17, v9, v17, 0x7fff
	s_delay_alu instid0(VALU_DEP_1) | instskip(NEXT) | instid1(VALU_DEP_1)
	v_and_b32_e32 v17, 0xffff0000, v17
	v_cndmask_b32_e32 v9, 0x7fc00000, v17, vcc_lo
	v_lshlrev_b32_e32 v17, 16, v10
	s_delay_alu instid0(VALU_DEP_1) | instskip(NEXT) | instid1(VALU_DEP_1)
	v_mul_f32_e32 v9, v9, v17
	v_bfe_u32 v17, v9, 16, 1
	v_cmp_o_f32_e32 vcc_lo, v9, v9
	s_delay_alu instid0(VALU_DEP_2) | instskip(NEXT) | instid1(VALU_DEP_1)
	v_add3_u32 v17, v9, v17, 0x7fff
	v_and_b32_e32 v17, 0xffff0000, v17
	s_delay_alu instid0(VALU_DEP_1) | instskip(NEXT) | instid1(VALU_DEP_1)
	v_cndmask_b32_e32 v9, 0x7fc00000, v17, vcc_lo
	v_mul_f32_e32 v9, v23, v9
	s_delay_alu instid0(VALU_DEP_1) | instskip(NEXT) | instid1(VALU_DEP_1)
	v_minmax_f32 v19, v9, s13, 0xc3e00000
	v_lshrrev_b32_e32 v25, 24, v19
	v_and_b32_e32 v26, 0x7f800000, v19
	v_and_b32_e32 v17, 0x7fffff, v19
	s_delay_alu instid0(VALU_DEP_3) | instskip(NEXT) | instid1(VALU_DEP_1)
	v_and_b32_e32 v9, 0x80, v25
	v_or_b32_e32 v20, 0x7e, v9
	s_delay_alu instid0(VALU_DEP_4)
	v_cmpx_ne_u64_e32 0x7f800000, v[26:27]
	s_xor_b32 s14, exec_lo, s0
	s_cbranch_execz .LBB20_75
; %bb.62:                               ;   in Loop: Header=BB20_29 Depth=1
	v_dual_mov_b32 v26, v18 :: v_dual_and_b32 v25, 0x7fffffff, v19
	s_mov_b32 s0, exec_lo
	s_delay_alu instid0(VALU_DEP_1)
	v_cmpx_gt_u64_e32 0x43e00001, v[25:26]
	s_xor_b32 s15, exec_lo, s0
	s_cbranch_execz .LBB20_74
; %bb.63:                               ;   in Loop: Header=BB20_29 Depth=1
	v_mov_b32_e32 v20, 0
	s_mov_b32 s16, exec_lo
	v_cmpx_ne_u32_e32 0, v19
	s_cbranch_execz .LBB20_73
; %bb.64:                               ;   in Loop: Header=BB20_29 Depth=1
	v_bfe_u32 v13, v19, 23, 8
	s_delay_alu instid0(VALU_DEP_1) | instskip(SKIP_2) | instid1(VALU_DEP_3)
	v_sub_nc_u32_e64 v19, 0x79, v13 clamp
	v_cmp_eq_u32_e32 vcc_lo, 0, v13
	v_add_nc_u32_e32 v13, 0xffffff88, v13
	v_cndmask_b32_e64 v29, v19, 0x78, vcc_lo
	v_or_b32_e32 v19, 0x800000, v17
	s_delay_alu instid0(VALU_DEP_3) | instskip(NEXT) | instid1(VALU_DEP_3)
	v_cndmask_b32_e64 v13, v13, 0xffffff89, vcc_lo
	v_add_nc_u32_e32 v20, 20, v29
	s_delay_alu instid0(VALU_DEP_3) | instskip(SKIP_1) | instid1(VALU_DEP_3)
	v_cndmask_b32_e32 v17, v19, v17, vcc_lo
	v_add_nc_u32_e32 v25, 19, v29
	v_lshlrev_b64 v[19:20], v20, -1
	s_delay_alu instid0(VALU_DEP_1) | instskip(NEXT) | instid1(VALU_DEP_2)
	v_not_b32_e32 v26, v20
	v_not_b32_e32 v30, v19
	s_delay_alu instid0(VALU_DEP_4) | instskip(NEXT) | instid1(VALU_DEP_3)
	v_lshlrev_b64 v[19:20], v25, 1
	v_and_b32_e32 v26, 0, v26
	v_lshrrev_b64 v[27:28], v29, v[17:18]
	s_delay_alu instid0(VALU_DEP_4) | instskip(NEXT) | instid1(VALU_DEP_1)
	v_and_b32_e32 v25, v17, v30
	v_cmp_eq_u64_e64 s0, v[25:26], v[19:20]
	s_delay_alu instid0(VALU_DEP_3) | instskip(NEXT) | instid1(VALU_DEP_1)
	v_and_b32_e32 v17, 0x100000, v27
	v_cmp_eq_u64_e64 s1, 0, v[17:18]
	v_lshrrev_b32_e32 v17, 23, v27
	s_delay_alu instid0(VALU_DEP_1) | instskip(NEXT) | instid1(VALU_DEP_3)
	v_add3_u32 v25, v13, v29, v17
	s_and_b32 vcc_lo, s1, s0
	s_mov_b32 s0, exec_lo
	v_subrev_co_ci_u32_e32 v19, vcc_lo, 0, v27, vcc_lo
	s_delay_alu instid0(VALU_DEP_2) | instskip(NEXT) | instid1(VALU_DEP_2)
	v_add_nc_u32_e32 v26, -1, v25
	v_and_b32_e32 v13, 0xfffff, v19
	s_delay_alu instid0(VALU_DEP_1) | instskip(SKIP_1) | instid1(VALU_DEP_4)
	v_add_co_u32 v19, vcc_lo, v13, v27
	v_add_co_ci_u32_e32 v20, vcc_lo, 0, v28, vcc_lo
                                        ; implicit-def: $vgpr13
	v_cmpx_ne_u32_e32 0, v26
	s_xor_b32 s0, exec_lo, s0
; %bb.65:                               ;   in Loop: Header=BB20_29 Depth=1
	s_delay_alu instid0(VALU_DEP_3) | instskip(SKIP_1) | instid1(VALU_DEP_2)
	v_and_b32_e32 v17, 0x1000000, v19
	v_bfe_u32 v13, v19, 24, 1
	v_cmp_eq_u64_e32 vcc_lo, 0, v[17:18]
	s_delay_alu instid0(VALU_DEP_2)
	v_lshrrev_b64 v[19:20], v13, v[19:20]
	v_cndmask_b32_e32 v13, v25, v26, vcc_lo
; %bb.66:                               ;   in Loop: Header=BB20_29 Depth=1
	s_and_not1_saveexec_b32 s0, s0
; %bb.67:                               ;   in Loop: Header=BB20_29 Depth=1
	s_delay_alu instid0(VALU_DEP_2)
	v_bfe_u32 v13, v19, 23, 1
; %bb.68:                               ;   in Loop: Header=BB20_29 Depth=1
	s_or_b32 exec_lo, exec_lo, s0
	s_delay_alu instid0(VALU_DEP_3) | instskip(NEXT) | instid1(VALU_DEP_2)
	v_lshrrev_b64 v[19:20], 20, v[19:20]
	v_cmp_gt_i32_e32 vcc_lo, 16, v13
	v_cmp_ne_u32_e64 s0, 0, v13
	s_delay_alu instid0(VALU_DEP_3) | instskip(NEXT) | instid1(VALU_DEP_1)
	v_dual_cndmask_b32 v20, 0, v20 :: v_dual_cndmask_b32 v19, 7, v19
	v_cmp_ne_u64_e32 vcc_lo, 0, v[19:20]
                                        ; implicit-def: $vgpr20
	s_delay_alu instid0(VALU_DEP_3) | instskip(NEXT) | instid1(SALU_CYCLE_1)
	s_or_b32 s0, s0, vcc_lo
	s_and_saveexec_b32 s1, s0
	s_delay_alu instid0(SALU_CYCLE_1)
	s_xor_b32 s0, exec_lo, s1
; %bb.69:                               ;   in Loop: Header=BB20_29 Depth=1
	v_min_i32_e32 v13, 15, v13
	s_delay_alu instid0(VALU_DEP_1) | instskip(NEXT) | instid1(VALU_DEP_1)
	v_lshl_or_b32 v9, v13, 3, v9
	v_and_or_b32 v20, v19, 7, v9
                                        ; implicit-def: $vgpr9
; %bb.70:                               ;   in Loop: Header=BB20_29 Depth=1
	s_and_not1_saveexec_b32 s0, s0
; %bb.71:                               ;   in Loop: Header=BB20_29 Depth=1
	v_mov_b32_e32 v20, v9
; %bb.72:                               ;   in Loop: Header=BB20_29 Depth=1
	s_or_b32 exec_lo, exec_lo, s0
.LBB20_73:                              ;   in Loop: Header=BB20_29 Depth=1
	s_delay_alu instid0(SALU_CYCLE_1)
	s_or_b32 exec_lo, exec_lo, s16
.LBB20_74:                              ;   in Loop: Header=BB20_29 Depth=1
	s_and_not1_saveexec_b32 s0, s15
	s_delay_alu instid0(SALU_CYCLE_1)
	s_or_b32 exec_lo, exec_lo, s0
                                        ; implicit-def: $vgpr25
.LBB20_75:                              ;   in Loop: Header=BB20_29 Depth=1
	s_and_not1_saveexec_b32 s0, s14
; %bb.76:                               ;   in Loop: Header=BB20_29 Depth=1
	v_cmp_eq_u64_e32 vcc_lo, 0, v[17:18]
	v_or_b32_e32 v9, 0x7f, v25
	s_delay_alu instid0(VALU_DEP_1)
	v_cndmask_b32_e32 v20, v9, v20, vcc_lo
; %bb.77:                               ;   in Loop: Header=BB20_29 Depth=1
	s_or_b32 exec_lo, exec_lo, s0
	v_dual_mov_b32 v26, v18 :: v_dual_and_b32 v9, 0xffff0000, v14
	v_add_nc_u32_e32 v19, 2, v22
	s_mov_b32 s0, exec_lo
	s_delay_alu instid0(VALU_DEP_2) | instskip(SKIP_3) | instid1(VALU_DEP_2)
	v_dual_mul_f32 v9, v21, v9 :: v_dual_and_b32 v10, 0xffff0000, v10
	global_store_b8 v19, v20, s[2:3]
	v_bfe_u32 v13, v9, 16, 1
	v_cmp_o_f32_e32 vcc_lo, v9, v9
	v_add3_u32 v13, v9, v13, 0x7fff
	s_delay_alu instid0(VALU_DEP_1) | instskip(NEXT) | instid1(VALU_DEP_1)
	v_and_b32_e32 v13, 0xffff0000, v13
	v_cndmask_b32_e32 v9, 0x7fc00000, v13, vcc_lo
	s_delay_alu instid0(VALU_DEP_1) | instskip(NEXT) | instid1(VALU_DEP_1)
	v_mul_f32_e32 v9, v9, v10
	v_bfe_u32 v10, v9, 16, 1
	v_cmp_o_f32_e32 vcc_lo, v9, v9
	s_delay_alu instid0(VALU_DEP_2) | instskip(NEXT) | instid1(VALU_DEP_1)
	v_add3_u32 v10, v9, v10, 0x7fff
	v_and_b32_e32 v10, 0xffff0000, v10
	s_delay_alu instid0(VALU_DEP_1) | instskip(NEXT) | instid1(VALU_DEP_1)
	v_cndmask_b32_e32 v9, 0x7fc00000, v10, vcc_lo
	v_mul_f32_e32 v9, v23, v9
	s_delay_alu instid0(VALU_DEP_1) | instskip(NEXT) | instid1(VALU_DEP_1)
	v_minmax_f32 v9, v9, s13, 0xc3e00000
	v_lshrrev_b32_e32 v14, 24, v9
	v_and_b32_e32 v25, 0x7f800000, v9
	v_and_b32_e32 v17, 0x7fffff, v9
	s_delay_alu instid0(VALU_DEP_3) | instskip(NEXT) | instid1(VALU_DEP_1)
	v_and_b32_e32 v13, 0x80, v14
	v_or_b32_e32 v10, 0x7e, v13
	s_delay_alu instid0(VALU_DEP_4)
	v_cmpx_ne_u64_e32 0x7f800000, v[25:26]
	s_xor_b32 s14, exec_lo, s0
	s_cbranch_execz .LBB20_91
; %bb.78:                               ;   in Loop: Header=BB20_29 Depth=1
	v_dual_mov_b32 v20, v18 :: v_dual_and_b32 v19, 0x7fffffff, v9
	s_mov_b32 s0, exec_lo
	s_delay_alu instid0(VALU_DEP_1)
	v_cmpx_gt_u64_e32 0x43e00001, v[19:20]
	s_xor_b32 s15, exec_lo, s0
	s_cbranch_execz .LBB20_90
; %bb.79:                               ;   in Loop: Header=BB20_29 Depth=1
	v_mov_b32_e32 v10, 0
	s_mov_b32 s16, exec_lo
	v_cmpx_ne_u32_e32 0, v9
	s_cbranch_execz .LBB20_89
; %bb.80:                               ;   in Loop: Header=BB20_29 Depth=1
	v_bfe_u32 v14, v9, 23, 8
	s_delay_alu instid0(VALU_DEP_1) | instskip(SKIP_2) | instid1(VALU_DEP_3)
	v_sub_nc_u32_e64 v9, 0x79, v14 clamp
	v_cmp_eq_u32_e32 vcc_lo, 0, v14
	v_add_nc_u32_e32 v14, 0xffffff88, v14
	v_cndmask_b32_e64 v27, v9, 0x78, vcc_lo
	v_or_b32_e32 v9, 0x800000, v17
	s_delay_alu instid0(VALU_DEP_1) | instskip(SKIP_1) | instid1(VALU_DEP_2)
	v_dual_cndmask_b32 v17, v9, v17 :: v_dual_add_nc_u32 v10, 20, v27
	v_add_nc_u32_e32 v19, 19, v27
	v_lshlrev_b64 v[9:10], v10, -1
	s_delay_alu instid0(VALU_DEP_3) | instskip(NEXT) | instid1(VALU_DEP_2)
	v_lshrrev_b64 v[25:26], v27, v[17:18]
	v_not_b32_e32 v20, v10
	s_delay_alu instid0(VALU_DEP_3) | instskip(SKIP_1) | instid1(VALU_DEP_3)
	v_not_b32_e32 v28, v9
	v_lshlrev_b64 v[9:10], v19, 1
	v_and_b32_e32 v20, 0, v20
	s_delay_alu instid0(VALU_DEP_3) | instskip(SKIP_1) | instid1(VALU_DEP_2)
	v_and_b32_e32 v19, v17, v28
	v_and_b32_e32 v17, 0x100000, v25
	v_cmp_eq_u64_e64 s0, v[19:20], v[9:10]
	s_delay_alu instid0(VALU_DEP_2) | instskip(SKIP_2) | instid1(VALU_DEP_3)
	v_cmp_eq_u64_e64 s1, 0, v[17:18]
	v_cndmask_b32_e64 v9, v14, 0xffffff89, vcc_lo
	v_lshrrev_b32_e32 v10, 23, v25
	s_and_b32 vcc_lo, s1, s0
	s_delay_alu instid0(VALU_DEP_1) | instskip(SKIP_2) | instid1(VALU_DEP_2)
	v_add3_u32 v19, v9, v27, v10
	v_subrev_co_ci_u32_e32 v14, vcc_lo, 0, v25, vcc_lo
	s_mov_b32 s0, exec_lo
	v_add_nc_u32_e32 v20, -1, v19
	s_delay_alu instid0(VALU_DEP_2) | instskip(NEXT) | instid1(VALU_DEP_1)
	v_and_b32_e32 v9, 0xfffff, v14
                                        ; implicit-def: $vgpr14
	v_add_co_u32 v9, vcc_lo, v9, v25
	v_add_co_ci_u32_e32 v10, vcc_lo, 0, v26, vcc_lo
	s_delay_alu instid0(VALU_DEP_4)
	v_cmpx_ne_u32_e32 0, v20
	s_xor_b32 s0, exec_lo, s0
; %bb.81:                               ;   in Loop: Header=BB20_29 Depth=1
	s_delay_alu instid0(VALU_DEP_3) | instskip(SKIP_1) | instid1(VALU_DEP_2)
	v_and_b32_e32 v17, 0x1000000, v9
	v_bfe_u32 v14, v9, 24, 1
	v_cmp_eq_u64_e32 vcc_lo, 0, v[17:18]
	s_delay_alu instid0(VALU_DEP_2)
	v_lshrrev_b64 v[9:10], v14, v[9:10]
	v_cndmask_b32_e32 v14, v19, v20, vcc_lo
; %bb.82:                               ;   in Loop: Header=BB20_29 Depth=1
	s_and_not1_saveexec_b32 s0, s0
; %bb.83:                               ;   in Loop: Header=BB20_29 Depth=1
	s_delay_alu instid0(VALU_DEP_2)
	v_bfe_u32 v14, v9, 23, 1
; %bb.84:                               ;   in Loop: Header=BB20_29 Depth=1
	s_or_b32 exec_lo, exec_lo, s0
	s_delay_alu instid0(VALU_DEP_3) | instskip(NEXT) | instid1(VALU_DEP_2)
	v_lshrrev_b64 v[9:10], 20, v[9:10]
	v_cmp_gt_i32_e32 vcc_lo, 16, v14
	v_cmp_ne_u32_e64 s0, 0, v14
	s_delay_alu instid0(VALU_DEP_3) | instskip(NEXT) | instid1(VALU_DEP_1)
	v_dual_cndmask_b32 v10, 0, v10 :: v_dual_cndmask_b32 v9, 7, v9
	v_cmp_ne_u64_e32 vcc_lo, 0, v[9:10]
                                        ; implicit-def: $vgpr10
	s_delay_alu instid0(VALU_DEP_3) | instskip(NEXT) | instid1(SALU_CYCLE_1)
	s_or_b32 s0, s0, vcc_lo
	s_and_saveexec_b32 s1, s0
	s_delay_alu instid0(SALU_CYCLE_1)
	s_xor_b32 s0, exec_lo, s1
; %bb.85:                               ;   in Loop: Header=BB20_29 Depth=1
	v_min_i32_e32 v10, 15, v14
	s_delay_alu instid0(VALU_DEP_1) | instskip(NEXT) | instid1(VALU_DEP_1)
	v_lshl_or_b32 v10, v10, 3, v13
                                        ; implicit-def: $vgpr13
	v_and_or_b32 v10, v9, 7, v10
; %bb.86:                               ;   in Loop: Header=BB20_29 Depth=1
	s_and_not1_saveexec_b32 s0, s0
; %bb.87:                               ;   in Loop: Header=BB20_29 Depth=1
	v_mov_b32_e32 v10, v13
; %bb.88:                               ;   in Loop: Header=BB20_29 Depth=1
	s_or_b32 exec_lo, exec_lo, s0
.LBB20_89:                              ;   in Loop: Header=BB20_29 Depth=1
	s_delay_alu instid0(SALU_CYCLE_1)
	s_or_b32 exec_lo, exec_lo, s16
.LBB20_90:                              ;   in Loop: Header=BB20_29 Depth=1
	s_and_not1_saveexec_b32 s0, s15
	s_delay_alu instid0(SALU_CYCLE_1)
	s_or_b32 exec_lo, exec_lo, s0
                                        ; implicit-def: $vgpr14
.LBB20_91:                              ;   in Loop: Header=BB20_29 Depth=1
	s_and_not1_saveexec_b32 s0, s14
; %bb.92:                               ;   in Loop: Header=BB20_29 Depth=1
	v_cmp_eq_u64_e32 vcc_lo, 0, v[17:18]
	v_or_b32_e32 v9, 0x7f, v14
	s_delay_alu instid0(VALU_DEP_1)
	v_cndmask_b32_e32 v10, v9, v10, vcc_lo
; %bb.93:                               ;   in Loop: Header=BB20_29 Depth=1
	s_or_b32 exec_lo, exec_lo, s0
	v_dual_mov_b32 v26, v18 :: v_dual_lshlrev_b32 v9, 16, v15
	s_mov_b32 s0, exec_lo
	s_delay_alu instid0(VALU_DEP_1) | instskip(SKIP_3) | instid1(VALU_DEP_2)
	v_dual_mul_f32 v9, v21, v9 :: v_dual_add_nc_u32 v20, 3, v22
	global_store_b8 v20, v10, s[2:3]
	v_bfe_u32 v13, v9, 16, 1
	v_cmp_o_f32_e32 vcc_lo, v9, v9
	v_add3_u32 v13, v9, v13, 0x7fff
	s_delay_alu instid0(VALU_DEP_1) | instskip(NEXT) | instid1(VALU_DEP_1)
	v_and_b32_e32 v13, 0xffff0000, v13
	v_cndmask_b32_e32 v9, 0x7fc00000, v13, vcc_lo
	v_lshlrev_b32_e32 v13, 16, v11
	s_delay_alu instid0(VALU_DEP_1) | instskip(NEXT) | instid1(VALU_DEP_1)
	v_mul_f32_e32 v9, v9, v13
	v_bfe_u32 v13, v9, 16, 1
	v_cmp_o_f32_e32 vcc_lo, v9, v9
	s_delay_alu instid0(VALU_DEP_2) | instskip(NEXT) | instid1(VALU_DEP_1)
	v_add3_u32 v13, v9, v13, 0x7fff
	v_and_b32_e32 v13, 0xffff0000, v13
	s_delay_alu instid0(VALU_DEP_1) | instskip(NEXT) | instid1(VALU_DEP_1)
	v_cndmask_b32_e32 v9, 0x7fc00000, v13, vcc_lo
	v_mul_f32_e32 v9, v23, v9
	s_delay_alu instid0(VALU_DEP_1) | instskip(NEXT) | instid1(VALU_DEP_1)
	v_minmax_f32 v9, v9, s13, 0xc3e00000
	v_lshrrev_b32_e32 v19, 24, v9
	v_and_b32_e32 v25, 0x7f800000, v9
	v_and_b32_e32 v17, 0x7fffff, v9
	s_delay_alu instid0(VALU_DEP_3) | instskip(NEXT) | instid1(VALU_DEP_1)
	v_and_b32_e32 v13, 0x80, v19
	v_or_b32_e32 v14, 0x7e, v13
	s_delay_alu instid0(VALU_DEP_4)
	v_cmpx_ne_u64_e32 0x7f800000, v[25:26]
	s_xor_b32 s14, exec_lo, s0
	s_cbranch_execz .LBB20_107
; %bb.94:                               ;   in Loop: Header=BB20_29 Depth=1
	v_dual_mov_b32 v20, v18 :: v_dual_and_b32 v19, 0x7fffffff, v9
	s_mov_b32 s0, exec_lo
	s_delay_alu instid0(VALU_DEP_1)
	v_cmpx_gt_u64_e32 0x43e00001, v[19:20]
	s_xor_b32 s15, exec_lo, s0
	s_cbranch_execz .LBB20_106
; %bb.95:                               ;   in Loop: Header=BB20_29 Depth=1
	v_mov_b32_e32 v14, 0
	s_mov_b32 s16, exec_lo
	v_cmpx_ne_u32_e32 0, v9
	s_cbranch_execz .LBB20_105
; %bb.96:                               ;   in Loop: Header=BB20_29 Depth=1
	v_bfe_u32 v14, v9, 23, 8
	s_delay_alu instid0(VALU_DEP_1) | instskip(SKIP_2) | instid1(VALU_DEP_3)
	v_sub_nc_u32_e64 v9, 0x79, v14 clamp
	v_cmp_eq_u32_e32 vcc_lo, 0, v14
	v_add_nc_u32_e32 v14, 0xffffff88, v14
	v_cndmask_b32_e64 v27, v9, 0x78, vcc_lo
	v_or_b32_e32 v9, 0x800000, v17
	s_delay_alu instid0(VALU_DEP_1) | instskip(SKIP_1) | instid1(VALU_DEP_2)
	v_dual_cndmask_b32 v17, v9, v17 :: v_dual_add_nc_u32 v10, 20, v27
	v_add_nc_u32_e32 v19, 19, v27
	v_lshlrev_b64 v[9:10], v10, -1
	s_delay_alu instid0(VALU_DEP_3) | instskip(NEXT) | instid1(VALU_DEP_2)
	v_lshrrev_b64 v[25:26], v27, v[17:18]
	v_not_b32_e32 v20, v10
	s_delay_alu instid0(VALU_DEP_3) | instskip(SKIP_1) | instid1(VALU_DEP_3)
	v_not_b32_e32 v28, v9
	v_lshlrev_b64 v[9:10], v19, 1
	v_and_b32_e32 v20, 0, v20
	s_delay_alu instid0(VALU_DEP_3) | instskip(SKIP_1) | instid1(VALU_DEP_2)
	v_and_b32_e32 v19, v17, v28
	v_and_b32_e32 v17, 0x100000, v25
	v_cmp_eq_u64_e64 s0, v[19:20], v[9:10]
	s_delay_alu instid0(VALU_DEP_2) | instskip(SKIP_2) | instid1(VALU_DEP_3)
	v_cmp_eq_u64_e64 s1, 0, v[17:18]
	v_cndmask_b32_e64 v9, v14, 0xffffff89, vcc_lo
	v_lshrrev_b32_e32 v10, 23, v25
	s_and_b32 vcc_lo, s1, s0
	s_delay_alu instid0(VALU_DEP_1) | instskip(SKIP_2) | instid1(VALU_DEP_2)
	v_add3_u32 v14, v9, v27, v10
	v_subrev_co_ci_u32_e32 v17, vcc_lo, 0, v25, vcc_lo
	s_mov_b32 s0, exec_lo
	v_add_nc_u32_e32 v19, -1, v14
	s_delay_alu instid0(VALU_DEP_2) | instskip(NEXT) | instid1(VALU_DEP_1)
	v_and_b32_e32 v9, 0xfffff, v17
                                        ; implicit-def: $vgpr17
	v_add_co_u32 v9, vcc_lo, v9, v25
	v_add_co_ci_u32_e32 v10, vcc_lo, 0, v26, vcc_lo
	s_delay_alu instid0(VALU_DEP_4)
	v_cmpx_ne_u32_e32 0, v19
	s_xor_b32 s0, exec_lo, s0
; %bb.97:                               ;   in Loop: Header=BB20_29 Depth=1
	s_delay_alu instid0(VALU_DEP_3) | instskip(SKIP_1) | instid1(VALU_DEP_2)
	v_and_b32_e32 v17, 0x1000000, v9
	v_bfe_u32 v20, v9, 24, 1
	v_cmp_eq_u64_e32 vcc_lo, 0, v[17:18]
	s_delay_alu instid0(VALU_DEP_2)
	v_lshrrev_b64 v[9:10], v20, v[9:10]
	v_cndmask_b32_e32 v17, v14, v19, vcc_lo
; %bb.98:                               ;   in Loop: Header=BB20_29 Depth=1
	s_and_not1_saveexec_b32 s0, s0
; %bb.99:                               ;   in Loop: Header=BB20_29 Depth=1
	s_delay_alu instid0(VALU_DEP_2)
	v_bfe_u32 v17, v9, 23, 1
; %bb.100:                              ;   in Loop: Header=BB20_29 Depth=1
	s_or_b32 exec_lo, exec_lo, s0
	s_delay_alu instid0(VALU_DEP_3) | instskip(NEXT) | instid1(VALU_DEP_2)
	v_lshrrev_b64 v[9:10], 20, v[9:10]
	v_cmp_gt_i32_e32 vcc_lo, 16, v17
	v_cmp_ne_u32_e64 s0, 0, v17
                                        ; implicit-def: $vgpr14
	s_delay_alu instid0(VALU_DEP_3) | instskip(NEXT) | instid1(VALU_DEP_1)
	v_dual_cndmask_b32 v10, 0, v10 :: v_dual_cndmask_b32 v9, 7, v9
	v_cmp_ne_u64_e32 vcc_lo, 0, v[9:10]
	s_delay_alu instid0(VALU_DEP_3) | instskip(NEXT) | instid1(SALU_CYCLE_1)
	s_or_b32 s0, s0, vcc_lo
	s_and_saveexec_b32 s1, s0
	s_delay_alu instid0(SALU_CYCLE_1)
	s_xor_b32 s0, exec_lo, s1
; %bb.101:                              ;   in Loop: Header=BB20_29 Depth=1
	v_min_i32_e32 v10, 15, v17
	s_delay_alu instid0(VALU_DEP_1) | instskip(NEXT) | instid1(VALU_DEP_1)
	v_lshl_or_b32 v10, v10, 3, v13
                                        ; implicit-def: $vgpr13
	v_and_or_b32 v14, v9, 7, v10
; %bb.102:                              ;   in Loop: Header=BB20_29 Depth=1
	s_and_not1_saveexec_b32 s0, s0
; %bb.103:                              ;   in Loop: Header=BB20_29 Depth=1
	v_mov_b32_e32 v14, v13
; %bb.104:                              ;   in Loop: Header=BB20_29 Depth=1
	s_or_b32 exec_lo, exec_lo, s0
.LBB20_105:                             ;   in Loop: Header=BB20_29 Depth=1
	s_delay_alu instid0(SALU_CYCLE_1)
	s_or_b32 exec_lo, exec_lo, s16
.LBB20_106:                             ;   in Loop: Header=BB20_29 Depth=1
	s_and_not1_saveexec_b32 s0, s15
	s_delay_alu instid0(SALU_CYCLE_1)
	s_or_b32 exec_lo, exec_lo, s0
                                        ; implicit-def: $vgpr19
.LBB20_107:                             ;   in Loop: Header=BB20_29 Depth=1
	s_and_not1_saveexec_b32 s0, s14
; %bb.108:                              ;   in Loop: Header=BB20_29 Depth=1
	v_cmp_eq_u64_e32 vcc_lo, 0, v[17:18]
	v_or_b32_e32 v9, 0x7f, v19
	s_delay_alu instid0(VALU_DEP_1)
	v_cndmask_b32_e32 v14, v9, v14, vcc_lo
; %bb.109:                              ;   in Loop: Header=BB20_29 Depth=1
	s_or_b32 exec_lo, exec_lo, s0
	v_dual_mov_b32 v20, v18 :: v_dual_and_b32 v9, 0xffff0000, v15
	v_add_nc_u32_e32 v15, 4, v22
	s_mov_b32 s0, exec_lo
	s_delay_alu instid0(VALU_DEP_2) | instskip(SKIP_2) | instid1(VALU_DEP_1)
	v_mul_f32_e32 v9, v21, v9
	global_store_b8 v15, v14, s[2:3]
	v_bfe_u32 v10, v9, 16, 1
	v_add3_u32 v10, v9, v10, 0x7fff
	s_delay_alu instid0(VALU_DEP_1) | instskip(SKIP_1) | instid1(VALU_DEP_2)
	v_and_b32_e32 v10, 0xffff0000, v10
	v_cmp_o_f32_e32 vcc_lo, v9, v9
	v_cndmask_b32_e32 v9, 0x7fc00000, v10, vcc_lo
	v_and_b32_e32 v10, 0xffff0000, v11
	s_delay_alu instid0(VALU_DEP_1) | instskip(NEXT) | instid1(VALU_DEP_1)
	v_mul_f32_e32 v9, v9, v10
	v_bfe_u32 v10, v9, 16, 1
	v_cmp_o_f32_e32 vcc_lo, v9, v9
	s_delay_alu instid0(VALU_DEP_2) | instskip(NEXT) | instid1(VALU_DEP_1)
	v_add3_u32 v10, v9, v10, 0x7fff
	v_and_b32_e32 v10, 0xffff0000, v10
	s_delay_alu instid0(VALU_DEP_1) | instskip(NEXT) | instid1(VALU_DEP_1)
	v_cndmask_b32_e32 v9, 0x7fc00000, v10, vcc_lo
	v_mul_f32_e32 v9, v23, v9
	s_delay_alu instid0(VALU_DEP_1) | instskip(NEXT) | instid1(VALU_DEP_1)
	v_minmax_f32 v9, v9, s13, 0xc3e00000
	v_lshrrev_b32_e32 v13, 24, v9
	v_and_b32_e32 v19, 0x7f800000, v9
	v_and_b32_e32 v17, 0x7fffff, v9
	s_delay_alu instid0(VALU_DEP_3) | instskip(NEXT) | instid1(VALU_DEP_1)
	v_and_b32_e32 v11, 0x80, v13
	v_or_b32_e32 v10, 0x7e, v11
	s_delay_alu instid0(VALU_DEP_4)
	v_cmpx_ne_u64_e32 0x7f800000, v[19:20]
	s_xor_b32 s14, exec_lo, s0
	s_cbranch_execz .LBB20_123
; %bb.110:                              ;   in Loop: Header=BB20_29 Depth=1
	v_dual_mov_b32 v14, v18 :: v_dual_and_b32 v13, 0x7fffffff, v9
	s_mov_b32 s0, exec_lo
	s_delay_alu instid0(VALU_DEP_1)
	v_cmpx_gt_u64_e32 0x43e00001, v[13:14]
	s_xor_b32 s15, exec_lo, s0
	s_cbranch_execz .LBB20_122
; %bb.111:                              ;   in Loop: Header=BB20_29 Depth=1
	v_mov_b32_e32 v10, 0
	s_mov_b32 s16, exec_lo
	v_cmpx_ne_u32_e32 0, v9
	s_cbranch_execz .LBB20_121
; %bb.112:                              ;   in Loop: Header=BB20_29 Depth=1
	v_bfe_u32 v15, v9, 23, 8
	s_delay_alu instid0(VALU_DEP_1) | instskip(SKIP_2) | instid1(VALU_DEP_3)
	v_sub_nc_u32_e64 v9, 0x79, v15 clamp
	v_cmp_eq_u32_e32 vcc_lo, 0, v15
	v_add_nc_u32_e32 v15, 0xffffff88, v15
	v_cndmask_b32_e64 v25, v9, 0x78, vcc_lo
	v_or_b32_e32 v9, 0x800000, v17
	s_delay_alu instid0(VALU_DEP_2) | instskip(NEXT) | instid1(VALU_DEP_2)
	v_add_nc_u32_e32 v10, 20, v25
	v_cndmask_b32_e32 v17, v9, v17, vcc_lo
	v_add_nc_u32_e32 v13, 19, v25
	s_delay_alu instid0(VALU_DEP_3) | instskip(NEXT) | instid1(VALU_DEP_1)
	v_lshlrev_b64 v[9:10], v10, -1
	v_not_b32_e32 v14, v10
	s_delay_alu instid0(VALU_DEP_2) | instskip(NEXT) | instid1(VALU_DEP_4)
	v_not_b32_e32 v26, v9
	v_lshlrev_b64 v[9:10], v13, 1
	s_delay_alu instid0(VALU_DEP_3) | instskip(SKIP_1) | instid1(VALU_DEP_4)
	v_and_b32_e32 v14, 0, v14
	v_lshrrev_b64 v[19:20], v25, v[17:18]
	v_and_b32_e32 v13, v17, v26
	s_delay_alu instid0(VALU_DEP_1) | instskip(NEXT) | instid1(VALU_DEP_3)
	v_cmp_eq_u64_e64 s0, v[13:14], v[9:10]
	v_and_b32_e32 v17, 0x100000, v19
	v_cndmask_b32_e64 v9, v15, 0xffffff89, vcc_lo
	v_lshrrev_b32_e32 v10, 23, v19
	s_delay_alu instid0(VALU_DEP_3) | instskip(NEXT) | instid1(VALU_DEP_2)
	v_cmp_eq_u64_e64 s1, 0, v[17:18]
	v_add3_u32 v14, v9, v25, v10
	s_delay_alu instid0(VALU_DEP_2) | instskip(NEXT) | instid1(VALU_DEP_1)
	s_and_b32 vcc_lo, s1, s0
	v_add_nc_u32_e32 v15, -1, v14
	v_subrev_co_ci_u32_e32 v13, vcc_lo, 0, v19, vcc_lo
	s_mov_b32 s0, exec_lo
	s_delay_alu instid0(VALU_DEP_1) | instskip(NEXT) | instid1(VALU_DEP_1)
	v_and_b32_e32 v9, 0xfffff, v13
                                        ; implicit-def: $vgpr13
	v_add_co_u32 v9, vcc_lo, v9, v19
	v_add_co_ci_u32_e32 v10, vcc_lo, 0, v20, vcc_lo
	v_cmpx_ne_u32_e32 0, v15
	s_xor_b32 s0, exec_lo, s0
; %bb.113:                              ;   in Loop: Header=BB20_29 Depth=1
	s_delay_alu instid0(VALU_DEP_3) | instskip(SKIP_1) | instid1(VALU_DEP_2)
	v_and_b32_e32 v17, 0x1000000, v9
	v_bfe_u32 v13, v9, 24, 1
	v_cmp_eq_u64_e32 vcc_lo, 0, v[17:18]
	s_delay_alu instid0(VALU_DEP_2)
	v_lshrrev_b64 v[9:10], v13, v[9:10]
	v_cndmask_b32_e32 v13, v14, v15, vcc_lo
; %bb.114:                              ;   in Loop: Header=BB20_29 Depth=1
	s_and_not1_saveexec_b32 s0, s0
; %bb.115:                              ;   in Loop: Header=BB20_29 Depth=1
	s_delay_alu instid0(VALU_DEP_2)
	v_bfe_u32 v13, v9, 23, 1
; %bb.116:                              ;   in Loop: Header=BB20_29 Depth=1
	s_or_b32 exec_lo, exec_lo, s0
	s_delay_alu instid0(VALU_DEP_3) | instskip(NEXT) | instid1(VALU_DEP_2)
	v_lshrrev_b64 v[9:10], 20, v[9:10]
	v_cmp_gt_i32_e32 vcc_lo, 16, v13
	v_cmp_ne_u32_e64 s0, 0, v13
	s_delay_alu instid0(VALU_DEP_3) | instskip(NEXT) | instid1(VALU_DEP_1)
	v_dual_cndmask_b32 v10, 0, v10 :: v_dual_cndmask_b32 v9, 7, v9
	v_cmp_ne_u64_e32 vcc_lo, 0, v[9:10]
                                        ; implicit-def: $vgpr10
	s_delay_alu instid0(VALU_DEP_3) | instskip(NEXT) | instid1(SALU_CYCLE_1)
	s_or_b32 s0, s0, vcc_lo
	s_and_saveexec_b32 s1, s0
	s_delay_alu instid0(SALU_CYCLE_1)
	s_xor_b32 s0, exec_lo, s1
; %bb.117:                              ;   in Loop: Header=BB20_29 Depth=1
	v_min_i32_e32 v10, 15, v13
	s_delay_alu instid0(VALU_DEP_1) | instskip(NEXT) | instid1(VALU_DEP_1)
	v_lshl_or_b32 v10, v10, 3, v11
                                        ; implicit-def: $vgpr11
	v_and_or_b32 v10, v9, 7, v10
; %bb.118:                              ;   in Loop: Header=BB20_29 Depth=1
	s_and_not1_saveexec_b32 s0, s0
; %bb.119:                              ;   in Loop: Header=BB20_29 Depth=1
	v_mov_b32_e32 v10, v11
; %bb.120:                              ;   in Loop: Header=BB20_29 Depth=1
	s_or_b32 exec_lo, exec_lo, s0
.LBB20_121:                             ;   in Loop: Header=BB20_29 Depth=1
	s_delay_alu instid0(SALU_CYCLE_1)
	s_or_b32 exec_lo, exec_lo, s16
.LBB20_122:                             ;   in Loop: Header=BB20_29 Depth=1
	s_and_not1_saveexec_b32 s0, s15
	s_delay_alu instid0(SALU_CYCLE_1)
	s_or_b32 exec_lo, exec_lo, s0
                                        ; implicit-def: $vgpr13
.LBB20_123:                             ;   in Loop: Header=BB20_29 Depth=1
	s_and_not1_saveexec_b32 s0, s14
; %bb.124:                              ;   in Loop: Header=BB20_29 Depth=1
	v_cmp_eq_u64_e32 vcc_lo, 0, v[17:18]
	v_or_b32_e32 v9, 0x7f, v13
	s_delay_alu instid0(VALU_DEP_1)
	v_cndmask_b32_e32 v10, v9, v10, vcc_lo
; %bb.125:                              ;   in Loop: Header=BB20_29 Depth=1
	s_or_b32 exec_lo, exec_lo, s0
	v_dual_mov_b32 v20, v18 :: v_dual_lshlrev_b32 v9, 16, v16
	v_add_nc_u32_e32 v15, 5, v22
	s_mov_b32 s0, exec_lo
	s_delay_alu instid0(VALU_DEP_2) | instskip(SKIP_3) | instid1(VALU_DEP_2)
	v_mul_f32_e32 v9, v21, v9
	global_store_b8 v15, v10, s[2:3]
	v_bfe_u32 v11, v9, 16, 1
	v_cmp_o_f32_e32 vcc_lo, v9, v9
	v_add3_u32 v11, v9, v11, 0x7fff
	s_delay_alu instid0(VALU_DEP_1) | instskip(NEXT) | instid1(VALU_DEP_1)
	v_and_b32_e32 v11, 0xffff0000, v11
	v_cndmask_b32_e32 v9, 0x7fc00000, v11, vcc_lo
	v_lshlrev_b32_e32 v11, 16, v12
	s_delay_alu instid0(VALU_DEP_1) | instskip(NEXT) | instid1(VALU_DEP_1)
	v_mul_f32_e32 v9, v9, v11
	v_bfe_u32 v11, v9, 16, 1
	v_cmp_o_f32_e32 vcc_lo, v9, v9
	s_delay_alu instid0(VALU_DEP_2) | instskip(NEXT) | instid1(VALU_DEP_1)
	v_add3_u32 v11, v9, v11, 0x7fff
	v_and_b32_e32 v11, 0xffff0000, v11
	s_delay_alu instid0(VALU_DEP_1) | instskip(NEXT) | instid1(VALU_DEP_1)
	v_cndmask_b32_e32 v9, 0x7fc00000, v11, vcc_lo
	v_mul_f32_e32 v9, v23, v9
	s_delay_alu instid0(VALU_DEP_1) | instskip(NEXT) | instid1(VALU_DEP_1)
	v_minmax_f32 v9, v9, s13, 0xc3e00000
	v_lshrrev_b32_e32 v14, 24, v9
	v_and_b32_e32 v19, 0x7f800000, v9
	v_and_b32_e32 v17, 0x7fffff, v9
	s_delay_alu instid0(VALU_DEP_3) | instskip(NEXT) | instid1(VALU_DEP_1)
	v_and_b32_e32 v11, 0x80, v14
	v_or_b32_e32 v13, 0x7e, v11
	s_delay_alu instid0(VALU_DEP_4)
	v_cmpx_ne_u64_e32 0x7f800000, v[19:20]
	s_xor_b32 s14, exec_lo, s0
	s_cbranch_execz .LBB20_139
; %bb.126:                              ;   in Loop: Header=BB20_29 Depth=1
	v_dual_mov_b32 v15, v18 :: v_dual_and_b32 v14, 0x7fffffff, v9
	s_mov_b32 s0, exec_lo
	s_delay_alu instid0(VALU_DEP_1)
	v_cmpx_gt_u64_e32 0x43e00001, v[14:15]
	s_xor_b32 s15, exec_lo, s0
	s_cbranch_execz .LBB20_138
; %bb.127:                              ;   in Loop: Header=BB20_29 Depth=1
	v_mov_b32_e32 v13, 0
	s_mov_b32 s16, exec_lo
	v_cmpx_ne_u32_e32 0, v9
	s_cbranch_execz .LBB20_137
; %bb.128:                              ;   in Loop: Header=BB20_29 Depth=1
	v_bfe_u32 v15, v9, 23, 8
	s_delay_alu instid0(VALU_DEP_1) | instskip(SKIP_2) | instid1(VALU_DEP_3)
	v_sub_nc_u32_e64 v9, 0x79, v15 clamp
	v_cmp_eq_u32_e32 vcc_lo, 0, v15
	v_add_nc_u32_e32 v15, 0xffffff88, v15
	v_cndmask_b32_e64 v25, v9, 0x78, vcc_lo
	v_or_b32_e32 v9, 0x800000, v17
	s_delay_alu instid0(VALU_DEP_2) | instskip(NEXT) | instid1(VALU_DEP_2)
	v_add_nc_u32_e32 v10, 20, v25
	v_cndmask_b32_e32 v17, v9, v17, vcc_lo
	v_add_nc_u32_e32 v13, 19, v25
	s_delay_alu instid0(VALU_DEP_3) | instskip(NEXT) | instid1(VALU_DEP_1)
	v_lshlrev_b64 v[9:10], v10, -1
	v_not_b32_e32 v14, v10
	s_delay_alu instid0(VALU_DEP_2) | instskip(NEXT) | instid1(VALU_DEP_4)
	v_not_b32_e32 v26, v9
	v_lshlrev_b64 v[9:10], v13, 1
	s_delay_alu instid0(VALU_DEP_3) | instskip(SKIP_1) | instid1(VALU_DEP_4)
	v_and_b32_e32 v14, 0, v14
	v_lshrrev_b64 v[19:20], v25, v[17:18]
	v_and_b32_e32 v13, v17, v26
	s_delay_alu instid0(VALU_DEP_1) | instskip(NEXT) | instid1(VALU_DEP_3)
	v_cmp_eq_u64_e64 s0, v[13:14], v[9:10]
	v_and_b32_e32 v17, 0x100000, v19
	v_cndmask_b32_e64 v9, v15, 0xffffff89, vcc_lo
	v_lshrrev_b32_e32 v10, 23, v19
	s_delay_alu instid0(VALU_DEP_3) | instskip(NEXT) | instid1(VALU_DEP_2)
	v_cmp_eq_u64_e64 s1, 0, v[17:18]
	v_add3_u32 v13, v9, v25, v10
	s_delay_alu instid0(VALU_DEP_2) | instskip(NEXT) | instid1(VALU_DEP_1)
	s_and_b32 vcc_lo, s1, s0
	v_add_nc_u32_e32 v15, -1, v13
	v_subrev_co_ci_u32_e32 v14, vcc_lo, 0, v19, vcc_lo
	s_mov_b32 s0, exec_lo
	s_delay_alu instid0(VALU_DEP_1) | instskip(NEXT) | instid1(VALU_DEP_1)
	v_and_b32_e32 v9, 0xfffff, v14
                                        ; implicit-def: $vgpr14
	v_add_co_u32 v9, vcc_lo, v9, v19
	v_add_co_ci_u32_e32 v10, vcc_lo, 0, v20, vcc_lo
	v_cmpx_ne_u32_e32 0, v15
	s_xor_b32 s0, exec_lo, s0
; %bb.129:                              ;   in Loop: Header=BB20_29 Depth=1
	s_delay_alu instid0(VALU_DEP_3) | instskip(SKIP_1) | instid1(VALU_DEP_2)
	v_and_b32_e32 v17, 0x1000000, v9
	v_bfe_u32 v14, v9, 24, 1
	v_cmp_eq_u64_e32 vcc_lo, 0, v[17:18]
	s_delay_alu instid0(VALU_DEP_2)
	v_lshrrev_b64 v[9:10], v14, v[9:10]
	v_cndmask_b32_e32 v14, v13, v15, vcc_lo
; %bb.130:                              ;   in Loop: Header=BB20_29 Depth=1
	s_and_not1_saveexec_b32 s0, s0
; %bb.131:                              ;   in Loop: Header=BB20_29 Depth=1
	s_delay_alu instid0(VALU_DEP_2)
	v_bfe_u32 v14, v9, 23, 1
; %bb.132:                              ;   in Loop: Header=BB20_29 Depth=1
	s_or_b32 exec_lo, exec_lo, s0
	s_delay_alu instid0(VALU_DEP_3) | instskip(NEXT) | instid1(VALU_DEP_2)
	v_lshrrev_b64 v[9:10], 20, v[9:10]
	v_cmp_gt_i32_e32 vcc_lo, 16, v14
	v_cmp_ne_u32_e64 s0, 0, v14
                                        ; implicit-def: $vgpr13
	s_delay_alu instid0(VALU_DEP_3) | instskip(NEXT) | instid1(VALU_DEP_1)
	v_dual_cndmask_b32 v10, 0, v10 :: v_dual_cndmask_b32 v9, 7, v9
	v_cmp_ne_u64_e32 vcc_lo, 0, v[9:10]
	s_delay_alu instid0(VALU_DEP_3) | instskip(NEXT) | instid1(SALU_CYCLE_1)
	s_or_b32 s0, s0, vcc_lo
	s_and_saveexec_b32 s1, s0
	s_delay_alu instid0(SALU_CYCLE_1)
	s_xor_b32 s0, exec_lo, s1
; %bb.133:                              ;   in Loop: Header=BB20_29 Depth=1
	v_min_i32_e32 v10, 15, v14
	s_delay_alu instid0(VALU_DEP_1) | instskip(NEXT) | instid1(VALU_DEP_1)
	v_lshl_or_b32 v10, v10, 3, v11
                                        ; implicit-def: $vgpr11
	v_and_or_b32 v13, v9, 7, v10
; %bb.134:                              ;   in Loop: Header=BB20_29 Depth=1
	s_and_not1_saveexec_b32 s0, s0
; %bb.135:                              ;   in Loop: Header=BB20_29 Depth=1
	v_mov_b32_e32 v13, v11
; %bb.136:                              ;   in Loop: Header=BB20_29 Depth=1
	s_or_b32 exec_lo, exec_lo, s0
.LBB20_137:                             ;   in Loop: Header=BB20_29 Depth=1
	s_delay_alu instid0(SALU_CYCLE_1)
	s_or_b32 exec_lo, exec_lo, s16
.LBB20_138:                             ;   in Loop: Header=BB20_29 Depth=1
	s_and_not1_saveexec_b32 s0, s15
	s_delay_alu instid0(SALU_CYCLE_1)
	s_or_b32 exec_lo, exec_lo, s0
                                        ; implicit-def: $vgpr14
.LBB20_139:                             ;   in Loop: Header=BB20_29 Depth=1
	s_and_not1_saveexec_b32 s0, s14
; %bb.140:                              ;   in Loop: Header=BB20_29 Depth=1
	v_cmp_eq_u64_e32 vcc_lo, 0, v[17:18]
	v_or_b32_e32 v9, 0x7f, v14
	s_delay_alu instid0(VALU_DEP_1)
	v_cndmask_b32_e32 v13, v9, v13, vcc_lo
; %bb.141:                              ;   in Loop: Header=BB20_29 Depth=1
	s_or_b32 exec_lo, exec_lo, s0
	v_and_b32_e32 v9, 0xffff0000, v16
	v_add_nc_u32_e32 v16, 6, v22
	s_mov_b32 s0, exec_lo
	v_mov_b32_e32 v15, v18
	s_delay_alu instid0(VALU_DEP_3) | instskip(SKIP_2) | instid1(VALU_DEP_1)
	v_mul_f32_e32 v9, v21, v9
	global_store_b8 v16, v13, s[2:3]
	v_bfe_u32 v10, v9, 16, 1
	v_add3_u32 v10, v9, v10, 0x7fff
	s_delay_alu instid0(VALU_DEP_1) | instskip(SKIP_1) | instid1(VALU_DEP_2)
	v_and_b32_e32 v10, 0xffff0000, v10
	v_cmp_o_f32_e32 vcc_lo, v9, v9
	v_cndmask_b32_e32 v9, 0x7fc00000, v10, vcc_lo
	v_and_b32_e32 v10, 0xffff0000, v12
	s_delay_alu instid0(VALU_DEP_1) | instskip(NEXT) | instid1(VALU_DEP_1)
	v_mul_f32_e32 v9, v9, v10
	v_bfe_u32 v10, v9, 16, 1
	v_cmp_o_f32_e32 vcc_lo, v9, v9
	s_delay_alu instid0(VALU_DEP_2) | instskip(NEXT) | instid1(VALU_DEP_1)
	v_add3_u32 v10, v9, v10, 0x7fff
	v_and_b32_e32 v10, 0xffff0000, v10
	s_delay_alu instid0(VALU_DEP_1) | instskip(NEXT) | instid1(VALU_DEP_1)
	v_cndmask_b32_e32 v9, 0x7fc00000, v10, vcc_lo
	v_mul_f32_e32 v9, v23, v9
	s_delay_alu instid0(VALU_DEP_1) | instskip(NEXT) | instid1(VALU_DEP_1)
	v_minmax_f32 v9, v9, s13, 0xc3e00000
	v_lshrrev_b32_e32 v12, 24, v9
	v_and_b32_e32 v14, 0x7f800000, v9
	v_and_b32_e32 v17, 0x7fffff, v9
	s_delay_alu instid0(VALU_DEP_3) | instskip(NEXT) | instid1(VALU_DEP_1)
	v_and_b32_e32 v11, 0x80, v12
	v_or_b32_e32 v10, 0x7e, v11
	s_delay_alu instid0(VALU_DEP_4)
	v_cmpx_ne_u64_e32 0x7f800000, v[14:15]
	s_xor_b32 s14, exec_lo, s0
	s_cbranch_execz .LBB20_155
; %bb.142:                              ;   in Loop: Header=BB20_29 Depth=1
	v_dual_mov_b32 v13, v18 :: v_dual_and_b32 v12, 0x7fffffff, v9
	s_mov_b32 s0, exec_lo
	s_delay_alu instid0(VALU_DEP_1)
	v_cmpx_gt_u64_e32 0x43e00001, v[12:13]
	s_xor_b32 s15, exec_lo, s0
	s_cbranch_execz .LBB20_154
; %bb.143:                              ;   in Loop: Header=BB20_29 Depth=1
	v_mov_b32_e32 v10, 0
	s_mov_b32 s16, exec_lo
	v_cmpx_ne_u32_e32 0, v9
	s_cbranch_execz .LBB20_153
; %bb.144:                              ;   in Loop: Header=BB20_29 Depth=1
	v_bfe_u32 v14, v9, 23, 8
	s_delay_alu instid0(VALU_DEP_1) | instskip(SKIP_2) | instid1(VALU_DEP_3)
	v_sub_nc_u32_e64 v9, 0x79, v14 clamp
	v_cmp_eq_u32_e32 vcc_lo, 0, v14
	v_add_nc_u32_e32 v14, 0xffffff88, v14
	v_cndmask_b32_e64 v19, v9, 0x78, vcc_lo
	v_or_b32_e32 v9, 0x800000, v17
	s_delay_alu instid0(VALU_DEP_1) | instskip(SKIP_1) | instid1(VALU_DEP_2)
	v_dual_cndmask_b32 v17, v9, v17 :: v_dual_add_nc_u32 v10, 20, v19
	v_add_nc_u32_e32 v12, 19, v19
	v_lshlrev_b64 v[9:10], v10, -1
	s_delay_alu instid0(VALU_DEP_3) | instskip(NEXT) | instid1(VALU_DEP_2)
	v_lshrrev_b64 v[15:16], v19, v[17:18]
	v_not_b32_e32 v13, v10
	s_delay_alu instid0(VALU_DEP_3) | instskip(SKIP_1) | instid1(VALU_DEP_3)
	v_not_b32_e32 v20, v9
	v_lshlrev_b64 v[9:10], v12, 1
	v_and_b32_e32 v13, 0, v13
	s_delay_alu instid0(VALU_DEP_3) | instskip(SKIP_1) | instid1(VALU_DEP_2)
	v_and_b32_e32 v12, v17, v20
	v_and_b32_e32 v17, 0x100000, v15
	v_cmp_eq_u64_e64 s0, v[12:13], v[9:10]
	s_delay_alu instid0(VALU_DEP_2) | instskip(SKIP_2) | instid1(VALU_DEP_3)
	v_cmp_eq_u64_e64 s1, 0, v[17:18]
	v_cndmask_b32_e64 v9, v14, 0xffffff89, vcc_lo
	v_lshrrev_b32_e32 v10, 23, v15
	s_and_b32 vcc_lo, s1, s0
	s_delay_alu instid0(VALU_DEP_1) | instskip(SKIP_2) | instid1(VALU_DEP_2)
	v_add3_u32 v13, v9, v19, v10
	v_subrev_co_ci_u32_e32 v12, vcc_lo, 0, v15, vcc_lo
	s_mov_b32 s0, exec_lo
	v_add_nc_u32_e32 v14, -1, v13
	s_delay_alu instid0(VALU_DEP_2) | instskip(NEXT) | instid1(VALU_DEP_1)
	v_and_b32_e32 v9, 0xfffff, v12
                                        ; implicit-def: $vgpr12
	v_add_co_u32 v9, vcc_lo, v9, v15
	v_add_co_ci_u32_e32 v10, vcc_lo, 0, v16, vcc_lo
	s_delay_alu instid0(VALU_DEP_4)
	v_cmpx_ne_u32_e32 0, v14
	s_xor_b32 s0, exec_lo, s0
; %bb.145:                              ;   in Loop: Header=BB20_29 Depth=1
	s_delay_alu instid0(VALU_DEP_3) | instskip(SKIP_1) | instid1(VALU_DEP_2)
	v_and_b32_e32 v17, 0x1000000, v9
	v_bfe_u32 v12, v9, 24, 1
	v_cmp_eq_u64_e32 vcc_lo, 0, v[17:18]
	s_delay_alu instid0(VALU_DEP_2)
	v_lshrrev_b64 v[9:10], v12, v[9:10]
	v_cndmask_b32_e32 v12, v13, v14, vcc_lo
; %bb.146:                              ;   in Loop: Header=BB20_29 Depth=1
	s_and_not1_saveexec_b32 s0, s0
; %bb.147:                              ;   in Loop: Header=BB20_29 Depth=1
	s_delay_alu instid0(VALU_DEP_2)
	v_bfe_u32 v12, v9, 23, 1
; %bb.148:                              ;   in Loop: Header=BB20_29 Depth=1
	s_or_b32 exec_lo, exec_lo, s0
	s_delay_alu instid0(VALU_DEP_3) | instskip(NEXT) | instid1(VALU_DEP_2)
	v_lshrrev_b64 v[9:10], 20, v[9:10]
	v_cmp_gt_i32_e32 vcc_lo, 16, v12
	v_cmp_ne_u32_e64 s0, 0, v12
	s_delay_alu instid0(VALU_DEP_3) | instskip(NEXT) | instid1(VALU_DEP_1)
	v_dual_cndmask_b32 v10, 0, v10 :: v_dual_cndmask_b32 v9, 7, v9
	v_cmp_ne_u64_e32 vcc_lo, 0, v[9:10]
                                        ; implicit-def: $vgpr10
	s_delay_alu instid0(VALU_DEP_3) | instskip(NEXT) | instid1(SALU_CYCLE_1)
	s_or_b32 s0, s0, vcc_lo
	s_and_saveexec_b32 s1, s0
	s_delay_alu instid0(SALU_CYCLE_1)
	s_xor_b32 s0, exec_lo, s1
; %bb.149:                              ;   in Loop: Header=BB20_29 Depth=1
	v_min_i32_e32 v10, 15, v12
	s_delay_alu instid0(VALU_DEP_1) | instskip(NEXT) | instid1(VALU_DEP_1)
	v_lshl_or_b32 v10, v10, 3, v11
                                        ; implicit-def: $vgpr11
	v_and_or_b32 v10, v9, 7, v10
; %bb.150:                              ;   in Loop: Header=BB20_29 Depth=1
	s_and_not1_saveexec_b32 s0, s0
; %bb.151:                              ;   in Loop: Header=BB20_29 Depth=1
	v_mov_b32_e32 v10, v11
; %bb.152:                              ;   in Loop: Header=BB20_29 Depth=1
	s_or_b32 exec_lo, exec_lo, s0
.LBB20_153:                             ;   in Loop: Header=BB20_29 Depth=1
	s_delay_alu instid0(SALU_CYCLE_1)
	s_or_b32 exec_lo, exec_lo, s16
.LBB20_154:                             ;   in Loop: Header=BB20_29 Depth=1
	s_and_not1_saveexec_b32 s0, s15
	s_delay_alu instid0(SALU_CYCLE_1)
	s_or_b32 exec_lo, exec_lo, s0
                                        ; implicit-def: $vgpr12
.LBB20_155:                             ;   in Loop: Header=BB20_29 Depth=1
	s_and_not1_saveexec_b32 s0, s14
; %bb.156:                              ;   in Loop: Header=BB20_29 Depth=1
	v_cmp_eq_u64_e32 vcc_lo, 0, v[17:18]
	v_or_b32_e32 v9, 0x7f, v12
	s_delay_alu instid0(VALU_DEP_1)
	v_cndmask_b32_e32 v10, v9, v10, vcc_lo
; %bb.157:                              ;   in Loop: Header=BB20_29 Depth=1
	s_or_b32 exec_lo, exec_lo, s0
	s_waitcnt vmcnt(1)
	v_lshlrev_b32_e32 v9, 16, v5
	s_mov_b32 s0, exec_lo
	v_dual_mov_b32 v15, v18 :: v_dual_add_nc_u32 v16, 7, v22
	s_delay_alu instid0(VALU_DEP_2) | instskip(SKIP_3) | instid1(VALU_DEP_2)
	v_mul_f32_e32 v9, v21, v9
	global_store_b8 v16, v10, s[2:3]
	v_bfe_u32 v11, v9, 16, 1
	v_cmp_o_f32_e32 vcc_lo, v9, v9
	v_add3_u32 v11, v9, v11, 0x7fff
	s_delay_alu instid0(VALU_DEP_1) | instskip(NEXT) | instid1(VALU_DEP_1)
	v_and_b32_e32 v11, 0xffff0000, v11
	v_cndmask_b32_e32 v9, 0x7fc00000, v11, vcc_lo
	s_waitcnt vmcnt(0)
	v_lshlrev_b32_e32 v11, 16, v1
	s_delay_alu instid0(VALU_DEP_1) | instskip(NEXT) | instid1(VALU_DEP_1)
	v_mul_f32_e32 v9, v9, v11
	v_bfe_u32 v11, v9, 16, 1
	v_cmp_o_f32_e32 vcc_lo, v9, v9
	s_delay_alu instid0(VALU_DEP_2) | instskip(NEXT) | instid1(VALU_DEP_1)
	v_add3_u32 v11, v9, v11, 0x7fff
	v_and_b32_e32 v11, 0xffff0000, v11
	s_delay_alu instid0(VALU_DEP_1) | instskip(NEXT) | instid1(VALU_DEP_1)
	v_cndmask_b32_e32 v9, 0x7fc00000, v11, vcc_lo
	v_mul_f32_e32 v9, v23, v9
	s_delay_alu instid0(VALU_DEP_1) | instskip(NEXT) | instid1(VALU_DEP_1)
	v_minmax_f32 v9, v9, s13, 0xc3e00000
	v_lshrrev_b32_e32 v13, 24, v9
	v_and_b32_e32 v14, 0x7f800000, v9
	v_and_b32_e32 v17, 0x7fffff, v9
	s_delay_alu instid0(VALU_DEP_3) | instskip(NEXT) | instid1(VALU_DEP_1)
	v_and_b32_e32 v11, 0x80, v13
	v_or_b32_e32 v12, 0x7e, v11
	s_delay_alu instid0(VALU_DEP_4)
	v_cmpx_ne_u64_e32 0x7f800000, v[14:15]
	s_xor_b32 s14, exec_lo, s0
	s_cbranch_execz .LBB20_171
; %bb.158:                              ;   in Loop: Header=BB20_29 Depth=1
	v_dual_mov_b32 v14, v18 :: v_dual_and_b32 v13, 0x7fffffff, v9
	s_mov_b32 s0, exec_lo
	s_delay_alu instid0(VALU_DEP_1)
	v_cmpx_gt_u64_e32 0x43e00001, v[13:14]
	s_xor_b32 s15, exec_lo, s0
	s_cbranch_execz .LBB20_170
; %bb.159:                              ;   in Loop: Header=BB20_29 Depth=1
	v_mov_b32_e32 v12, 0
	s_mov_b32 s16, exec_lo
	v_cmpx_ne_u32_e32 0, v9
	s_cbranch_execz .LBB20_169
; %bb.160:                              ;   in Loop: Header=BB20_29 Depth=1
	v_bfe_u32 v14, v9, 23, 8
	s_delay_alu instid0(VALU_DEP_1) | instskip(SKIP_2) | instid1(VALU_DEP_3)
	v_sub_nc_u32_e64 v9, 0x79, v14 clamp
	v_cmp_eq_u32_e32 vcc_lo, 0, v14
	v_add_nc_u32_e32 v14, 0xffffff88, v14
	v_cndmask_b32_e64 v19, v9, 0x78, vcc_lo
	v_or_b32_e32 v9, 0x800000, v17
	s_delay_alu instid0(VALU_DEP_1) | instskip(SKIP_1) | instid1(VALU_DEP_2)
	v_dual_cndmask_b32 v17, v9, v17 :: v_dual_add_nc_u32 v10, 20, v19
	v_add_nc_u32_e32 v12, 19, v19
	v_lshlrev_b64 v[9:10], v10, -1
	s_delay_alu instid0(VALU_DEP_3) | instskip(NEXT) | instid1(VALU_DEP_2)
	v_lshrrev_b64 v[15:16], v19, v[17:18]
	v_not_b32_e32 v13, v10
	s_delay_alu instid0(VALU_DEP_3) | instskip(SKIP_1) | instid1(VALU_DEP_3)
	v_not_b32_e32 v20, v9
	v_lshlrev_b64 v[9:10], v12, 1
	v_and_b32_e32 v13, 0, v13
	s_delay_alu instid0(VALU_DEP_3) | instskip(SKIP_1) | instid1(VALU_DEP_2)
	v_and_b32_e32 v12, v17, v20
	v_and_b32_e32 v17, 0x100000, v15
	v_cmp_eq_u64_e64 s0, v[12:13], v[9:10]
	s_delay_alu instid0(VALU_DEP_2) | instskip(SKIP_2) | instid1(VALU_DEP_3)
	v_cmp_eq_u64_e64 s1, 0, v[17:18]
	v_cndmask_b32_e64 v9, v14, 0xffffff89, vcc_lo
	v_lshrrev_b32_e32 v10, 23, v15
	s_and_b32 vcc_lo, s1, s0
	s_delay_alu instid0(VALU_DEP_1) | instskip(SKIP_2) | instid1(VALU_DEP_2)
	v_add3_u32 v12, v9, v19, v10
	v_subrev_co_ci_u32_e32 v13, vcc_lo, 0, v15, vcc_lo
	s_mov_b32 s0, exec_lo
	v_add_nc_u32_e32 v14, -1, v12
	s_delay_alu instid0(VALU_DEP_2) | instskip(NEXT) | instid1(VALU_DEP_1)
	v_and_b32_e32 v9, 0xfffff, v13
                                        ; implicit-def: $vgpr13
	v_add_co_u32 v9, vcc_lo, v9, v15
	v_add_co_ci_u32_e32 v10, vcc_lo, 0, v16, vcc_lo
	s_delay_alu instid0(VALU_DEP_4)
	v_cmpx_ne_u32_e32 0, v14
	s_xor_b32 s0, exec_lo, s0
; %bb.161:                              ;   in Loop: Header=BB20_29 Depth=1
	s_delay_alu instid0(VALU_DEP_3) | instskip(SKIP_1) | instid1(VALU_DEP_2)
	v_and_b32_e32 v17, 0x1000000, v9
	v_bfe_u32 v13, v9, 24, 1
	v_cmp_eq_u64_e32 vcc_lo, 0, v[17:18]
	s_delay_alu instid0(VALU_DEP_2)
	v_lshrrev_b64 v[9:10], v13, v[9:10]
	v_cndmask_b32_e32 v13, v12, v14, vcc_lo
; %bb.162:                              ;   in Loop: Header=BB20_29 Depth=1
	s_and_not1_saveexec_b32 s0, s0
; %bb.163:                              ;   in Loop: Header=BB20_29 Depth=1
	s_delay_alu instid0(VALU_DEP_2)
	v_bfe_u32 v13, v9, 23, 1
; %bb.164:                              ;   in Loop: Header=BB20_29 Depth=1
	s_or_b32 exec_lo, exec_lo, s0
	s_delay_alu instid0(VALU_DEP_3) | instskip(NEXT) | instid1(VALU_DEP_2)
	v_lshrrev_b64 v[9:10], 20, v[9:10]
	v_cmp_gt_i32_e32 vcc_lo, 16, v13
	v_cmp_ne_u32_e64 s0, 0, v13
                                        ; implicit-def: $vgpr12
	s_delay_alu instid0(VALU_DEP_3) | instskip(NEXT) | instid1(VALU_DEP_1)
	v_dual_cndmask_b32 v10, 0, v10 :: v_dual_cndmask_b32 v9, 7, v9
	v_cmp_ne_u64_e32 vcc_lo, 0, v[9:10]
	s_delay_alu instid0(VALU_DEP_3) | instskip(NEXT) | instid1(SALU_CYCLE_1)
	s_or_b32 s0, s0, vcc_lo
	s_and_saveexec_b32 s1, s0
	s_delay_alu instid0(SALU_CYCLE_1)
	s_xor_b32 s0, exec_lo, s1
; %bb.165:                              ;   in Loop: Header=BB20_29 Depth=1
	v_min_i32_e32 v10, 15, v13
	s_delay_alu instid0(VALU_DEP_1) | instskip(NEXT) | instid1(VALU_DEP_1)
	v_lshl_or_b32 v10, v10, 3, v11
                                        ; implicit-def: $vgpr11
	v_and_or_b32 v12, v9, 7, v10
; %bb.166:                              ;   in Loop: Header=BB20_29 Depth=1
	s_and_not1_saveexec_b32 s0, s0
; %bb.167:                              ;   in Loop: Header=BB20_29 Depth=1
	v_mov_b32_e32 v12, v11
; %bb.168:                              ;   in Loop: Header=BB20_29 Depth=1
	s_or_b32 exec_lo, exec_lo, s0
.LBB20_169:                             ;   in Loop: Header=BB20_29 Depth=1
	s_delay_alu instid0(SALU_CYCLE_1)
	s_or_b32 exec_lo, exec_lo, s16
.LBB20_170:                             ;   in Loop: Header=BB20_29 Depth=1
	s_and_not1_saveexec_b32 s0, s15
	s_delay_alu instid0(SALU_CYCLE_1)
	s_or_b32 exec_lo, exec_lo, s0
                                        ; implicit-def: $vgpr13
.LBB20_171:                             ;   in Loop: Header=BB20_29 Depth=1
	s_and_not1_saveexec_b32 s0, s14
; %bb.172:                              ;   in Loop: Header=BB20_29 Depth=1
	v_cmp_eq_u64_e32 vcc_lo, 0, v[17:18]
	v_or_b32_e32 v9, 0x7f, v13
	s_delay_alu instid0(VALU_DEP_1)
	v_cndmask_b32_e32 v12, v9, v12, vcc_lo
; %bb.173:                              ;   in Loop: Header=BB20_29 Depth=1
	s_or_b32 exec_lo, exec_lo, s0
	v_dual_mov_b32 v14, v18 :: v_dual_and_b32 v5, 0xffff0000, v5
	v_and_b32_e32 v1, 0xffff0000, v1
	v_add_nc_u32_e32 v11, 8, v22
	s_mov_b32 s0, exec_lo
	s_delay_alu instid0(VALU_DEP_3) | instskip(SKIP_3) | instid1(VALU_DEP_2)
	v_mul_f32_e32 v5, v21, v5
	global_store_b8 v11, v12, s[2:3]
	v_bfe_u32 v9, v5, 16, 1
	v_cmp_o_f32_e32 vcc_lo, v5, v5
	v_add3_u32 v9, v5, v9, 0x7fff
	s_delay_alu instid0(VALU_DEP_1) | instskip(NEXT) | instid1(VALU_DEP_1)
	v_and_b32_e32 v9, 0xffff0000, v9
	v_cndmask_b32_e32 v5, 0x7fc00000, v9, vcc_lo
	s_delay_alu instid0(VALU_DEP_1) | instskip(NEXT) | instid1(VALU_DEP_1)
	v_mul_f32_e32 v1, v5, v1
	v_bfe_u32 v5, v1, 16, 1
	v_cmp_o_f32_e32 vcc_lo, v1, v1
	s_delay_alu instid0(VALU_DEP_2) | instskip(NEXT) | instid1(VALU_DEP_1)
	v_add3_u32 v5, v1, v5, 0x7fff
	v_and_b32_e32 v5, 0xffff0000, v5
	s_delay_alu instid0(VALU_DEP_1) | instskip(NEXT) | instid1(VALU_DEP_1)
	v_cndmask_b32_e32 v1, 0x7fc00000, v5, vcc_lo
	v_mul_f32_e32 v1, v23, v1
	s_delay_alu instid0(VALU_DEP_1) | instskip(NEXT) | instid1(VALU_DEP_1)
	v_minmax_f32 v9, v1, s13, 0xc3e00000
	v_lshrrev_b32_e32 v10, 24, v9
	v_and_b32_e32 v13, 0x7f800000, v9
	v_and_b32_e32 v17, 0x7fffff, v9
	s_delay_alu instid0(VALU_DEP_3) | instskip(NEXT) | instid1(VALU_DEP_1)
	v_and_b32_e32 v1, 0x80, v10
	v_or_b32_e32 v5, 0x7e, v1
	s_delay_alu instid0(VALU_DEP_4)
	v_cmpx_ne_u64_e32 0x7f800000, v[13:14]
	s_xor_b32 s14, exec_lo, s0
	s_cbranch_execz .LBB20_187
; %bb.174:                              ;   in Loop: Header=BB20_29 Depth=1
	v_dual_mov_b32 v11, v18 :: v_dual_and_b32 v10, 0x7fffffff, v9
	s_mov_b32 s0, exec_lo
	s_delay_alu instid0(VALU_DEP_1)
	v_cmpx_gt_u64_e32 0x43e00001, v[10:11]
	s_xor_b32 s15, exec_lo, s0
	s_cbranch_execz .LBB20_186
; %bb.175:                              ;   in Loop: Header=BB20_29 Depth=1
	v_mov_b32_e32 v5, 0
	s_mov_b32 s16, exec_lo
	v_cmpx_ne_u32_e32 0, v9
	s_cbranch_execz .LBB20_185
; %bb.176:                              ;   in Loop: Header=BB20_29 Depth=1
	v_bfe_u32 v5, v9, 23, 8
	s_delay_alu instid0(VALU_DEP_1) | instskip(SKIP_2) | instid1(VALU_DEP_3)
	v_sub_nc_u32_e64 v9, 0x79, v5 clamp
	v_cmp_eq_u32_e32 vcc_lo, 0, v5
	v_add_nc_u32_e32 v5, 0xffffff88, v5
	v_cndmask_b32_e64 v15, v9, 0x78, vcc_lo
	v_or_b32_e32 v9, 0x800000, v17
	s_delay_alu instid0(VALU_DEP_3) | instskip(NEXT) | instid1(VALU_DEP_2)
	v_cndmask_b32_e64 v5, v5, 0xffffff89, vcc_lo
	v_dual_cndmask_b32 v17, v9, v17 :: v_dual_add_nc_u32 v10, 20, v15
	v_add_nc_u32_e32 v11, 19, v15
	s_delay_alu instid0(VALU_DEP_2) | instskip(NEXT) | instid1(VALU_DEP_3)
	v_lshlrev_b64 v[9:10], v10, -1
	v_lshrrev_b64 v[13:14], v15, v[17:18]
	s_delay_alu instid0(VALU_DEP_2) | instskip(NEXT) | instid1(VALU_DEP_3)
	v_not_b32_e32 v12, v10
	v_not_b32_e32 v16, v9
	v_lshlrev_b64 v[9:10], v11, 1
	s_delay_alu instid0(VALU_DEP_3) | instskip(NEXT) | instid1(VALU_DEP_3)
	v_and_b32_e32 v12, 0, v12
	v_and_b32_e32 v11, v17, v16
	;; [unrolled: 1-line block ×3, first 2 shown]
	s_delay_alu instid0(VALU_DEP_2) | instskip(NEXT) | instid1(VALU_DEP_2)
	v_cmp_eq_u64_e64 s0, v[11:12], v[9:10]
	v_cmp_eq_u64_e64 s1, 0, v[17:18]
	v_lshrrev_b32_e32 v9, 23, v13
                                        ; implicit-def: $vgpr11
	s_delay_alu instid0(VALU_DEP_1) | instskip(NEXT) | instid1(VALU_DEP_3)
	v_add3_u32 v5, v5, v15, v9
	s_and_b32 vcc_lo, s1, s0
	s_mov_b32 s0, exec_lo
	v_subrev_co_ci_u32_e32 v10, vcc_lo, 0, v13, vcc_lo
	s_delay_alu instid0(VALU_DEP_2) | instskip(NEXT) | instid1(VALU_DEP_2)
	v_add_nc_u32_e32 v12, -1, v5
	v_and_b32_e32 v9, 0xfffff, v10
	s_delay_alu instid0(VALU_DEP_1) | instskip(SKIP_1) | instid1(VALU_DEP_4)
	v_add_co_u32 v9, vcc_lo, v9, v13
	v_add_co_ci_u32_e32 v10, vcc_lo, 0, v14, vcc_lo
	v_cmpx_ne_u32_e32 0, v12
	s_xor_b32 s0, exec_lo, s0
; %bb.177:                              ;   in Loop: Header=BB20_29 Depth=1
	s_delay_alu instid0(VALU_DEP_3) | instskip(SKIP_1) | instid1(VALU_DEP_2)
	v_and_b32_e32 v17, 0x1000000, v9
	v_bfe_u32 v11, v9, 24, 1
	v_cmp_eq_u64_e32 vcc_lo, 0, v[17:18]
	s_delay_alu instid0(VALU_DEP_2)
	v_lshrrev_b64 v[9:10], v11, v[9:10]
	v_cndmask_b32_e32 v11, v5, v12, vcc_lo
; %bb.178:                              ;   in Loop: Header=BB20_29 Depth=1
	s_and_not1_saveexec_b32 s0, s0
; %bb.179:                              ;   in Loop: Header=BB20_29 Depth=1
	s_delay_alu instid0(VALU_DEP_2)
	v_bfe_u32 v11, v9, 23, 1
; %bb.180:                              ;   in Loop: Header=BB20_29 Depth=1
	s_or_b32 exec_lo, exec_lo, s0
	s_delay_alu instid0(VALU_DEP_3) | instskip(NEXT) | instid1(VALU_DEP_2)
	v_lshrrev_b64 v[9:10], 20, v[9:10]
	v_cmp_gt_i32_e32 vcc_lo, 16, v11
	v_cmp_ne_u32_e64 s0, 0, v11
                                        ; implicit-def: $vgpr5
	s_delay_alu instid0(VALU_DEP_3) | instskip(NEXT) | instid1(VALU_DEP_1)
	v_dual_cndmask_b32 v10, 0, v10 :: v_dual_cndmask_b32 v9, 7, v9
	v_cmp_ne_u64_e32 vcc_lo, 0, v[9:10]
	s_delay_alu instid0(VALU_DEP_3) | instskip(NEXT) | instid1(SALU_CYCLE_1)
	s_or_b32 s0, s0, vcc_lo
	s_and_saveexec_b32 s1, s0
	s_delay_alu instid0(SALU_CYCLE_1)
	s_xor_b32 s0, exec_lo, s1
; %bb.181:                              ;   in Loop: Header=BB20_29 Depth=1
	v_min_i32_e32 v5, 15, v11
	s_delay_alu instid0(VALU_DEP_1) | instskip(NEXT) | instid1(VALU_DEP_1)
	v_lshl_or_b32 v1, v5, 3, v1
	v_and_or_b32 v5, v9, 7, v1
                                        ; implicit-def: $vgpr1
; %bb.182:                              ;   in Loop: Header=BB20_29 Depth=1
	s_and_not1_saveexec_b32 s0, s0
; %bb.183:                              ;   in Loop: Header=BB20_29 Depth=1
	v_mov_b32_e32 v5, v1
; %bb.184:                              ;   in Loop: Header=BB20_29 Depth=1
	s_or_b32 exec_lo, exec_lo, s0
.LBB20_185:                             ;   in Loop: Header=BB20_29 Depth=1
	s_delay_alu instid0(SALU_CYCLE_1)
	s_or_b32 exec_lo, exec_lo, s16
.LBB20_186:                             ;   in Loop: Header=BB20_29 Depth=1
	s_and_not1_saveexec_b32 s0, s15
	s_delay_alu instid0(SALU_CYCLE_1)
	s_or_b32 exec_lo, exec_lo, s0
                                        ; implicit-def: $vgpr10
.LBB20_187:                             ;   in Loop: Header=BB20_29 Depth=1
	s_and_not1_saveexec_b32 s0, s14
; %bb.188:                              ;   in Loop: Header=BB20_29 Depth=1
	v_cmp_eq_u64_e32 vcc_lo, 0, v[17:18]
	v_or_b32_e32 v1, 0x7f, v10
	s_delay_alu instid0(VALU_DEP_1)
	v_cndmask_b32_e32 v5, v1, v5, vcc_lo
; %bb.189:                              ;   in Loop: Header=BB20_29 Depth=1
	s_or_b32 exec_lo, exec_lo, s0
	v_lshlrev_b32_e32 v1, 16, v6
	s_mov_b32 s0, exec_lo
	v_dual_mov_b32 v13, v18 :: v_dual_add_nc_u32 v14, 9, v22
	s_delay_alu instid0(VALU_DEP_2) | instskip(SKIP_3) | instid1(VALU_DEP_2)
	v_mul_f32_e32 v1, v21, v1
	global_store_b8 v14, v5, s[2:3]
	v_bfe_u32 v9, v1, 16, 1
	v_cmp_o_f32_e32 vcc_lo, v1, v1
	v_add3_u32 v9, v1, v9, 0x7fff
	s_delay_alu instid0(VALU_DEP_1) | instskip(NEXT) | instid1(VALU_DEP_1)
	v_and_b32_e32 v9, 0xffff0000, v9
	v_cndmask_b32_e32 v1, 0x7fc00000, v9, vcc_lo
	v_lshlrev_b32_e32 v9, 16, v2
	s_delay_alu instid0(VALU_DEP_1) | instskip(NEXT) | instid1(VALU_DEP_1)
	v_mul_f32_e32 v1, v1, v9
	v_bfe_u32 v9, v1, 16, 1
	v_cmp_o_f32_e32 vcc_lo, v1, v1
	s_delay_alu instid0(VALU_DEP_2) | instskip(NEXT) | instid1(VALU_DEP_1)
	v_add3_u32 v9, v1, v9, 0x7fff
	v_and_b32_e32 v9, 0xffff0000, v9
	s_delay_alu instid0(VALU_DEP_1) | instskip(NEXT) | instid1(VALU_DEP_1)
	v_cndmask_b32_e32 v1, 0x7fc00000, v9, vcc_lo
	v_mul_f32_e32 v1, v23, v1
	s_delay_alu instid0(VALU_DEP_1) | instskip(NEXT) | instid1(VALU_DEP_1)
	v_minmax_f32 v9, v1, s13, 0xc3e00000
	v_lshrrev_b32_e32 v11, 24, v9
	v_and_b32_e32 v12, 0x7f800000, v9
	v_and_b32_e32 v17, 0x7fffff, v9
	s_delay_alu instid0(VALU_DEP_3) | instskip(NEXT) | instid1(VALU_DEP_1)
	v_and_b32_e32 v1, 0x80, v11
	v_or_b32_e32 v10, 0x7e, v1
	s_delay_alu instid0(VALU_DEP_4)
	v_cmpx_ne_u64_e32 0x7f800000, v[12:13]
	s_xor_b32 s14, exec_lo, s0
	s_cbranch_execz .LBB20_203
; %bb.190:                              ;   in Loop: Header=BB20_29 Depth=1
	v_dual_mov_b32 v12, v18 :: v_dual_and_b32 v11, 0x7fffffff, v9
	s_mov_b32 s0, exec_lo
	s_delay_alu instid0(VALU_DEP_1)
	v_cmpx_gt_u64_e32 0x43e00001, v[11:12]
	s_xor_b32 s15, exec_lo, s0
	s_cbranch_execz .LBB20_202
; %bb.191:                              ;   in Loop: Header=BB20_29 Depth=1
	v_mov_b32_e32 v10, 0
	s_mov_b32 s16, exec_lo
	v_cmpx_ne_u32_e32 0, v9
	s_cbranch_execz .LBB20_201
; %bb.192:                              ;   in Loop: Header=BB20_29 Depth=1
	v_bfe_u32 v5, v9, 23, 8
	s_delay_alu instid0(VALU_DEP_1) | instskip(SKIP_2) | instid1(VALU_DEP_3)
	v_sub_nc_u32_e64 v9, 0x79, v5 clamp
	v_cmp_eq_u32_e32 vcc_lo, 0, v5
	v_add_nc_u32_e32 v5, 0xffffff88, v5
	v_cndmask_b32_e64 v15, v9, 0x78, vcc_lo
	v_or_b32_e32 v9, 0x800000, v17
	s_delay_alu instid0(VALU_DEP_3) | instskip(NEXT) | instid1(VALU_DEP_2)
	v_cndmask_b32_e64 v5, v5, 0xffffff89, vcc_lo
	v_dual_cndmask_b32 v17, v9, v17 :: v_dual_add_nc_u32 v10, 20, v15
	v_add_nc_u32_e32 v11, 19, v15
	s_delay_alu instid0(VALU_DEP_2) | instskip(NEXT) | instid1(VALU_DEP_3)
	v_lshlrev_b64 v[9:10], v10, -1
	v_lshrrev_b64 v[13:14], v15, v[17:18]
	s_delay_alu instid0(VALU_DEP_2) | instskip(NEXT) | instid1(VALU_DEP_3)
	v_not_b32_e32 v12, v10
	v_not_b32_e32 v16, v9
	v_lshlrev_b64 v[9:10], v11, 1
	s_delay_alu instid0(VALU_DEP_3) | instskip(NEXT) | instid1(VALU_DEP_3)
	v_and_b32_e32 v12, 0, v12
	v_and_b32_e32 v11, v17, v16
	;; [unrolled: 1-line block ×3, first 2 shown]
	s_delay_alu instid0(VALU_DEP_2) | instskip(NEXT) | instid1(VALU_DEP_2)
	v_cmp_eq_u64_e64 s0, v[11:12], v[9:10]
	v_cmp_eq_u64_e64 s1, 0, v[17:18]
	v_lshrrev_b32_e32 v9, 23, v13
	s_delay_alu instid0(VALU_DEP_1) | instskip(NEXT) | instid1(VALU_DEP_3)
	v_add3_u32 v11, v5, v15, v9
	s_and_b32 vcc_lo, s1, s0
	s_mov_b32 s0, exec_lo
	v_subrev_co_ci_u32_e32 v10, vcc_lo, 0, v13, vcc_lo
	s_delay_alu instid0(VALU_DEP_2) | instskip(NEXT) | instid1(VALU_DEP_2)
	v_add_nc_u32_e32 v12, -1, v11
	v_and_b32_e32 v5, 0xfffff, v10
	s_delay_alu instid0(VALU_DEP_1) | instskip(SKIP_1) | instid1(VALU_DEP_4)
	v_add_co_u32 v9, vcc_lo, v5, v13
	v_add_co_ci_u32_e32 v10, vcc_lo, 0, v14, vcc_lo
                                        ; implicit-def: $vgpr5
	v_cmpx_ne_u32_e32 0, v12
	s_xor_b32 s0, exec_lo, s0
; %bb.193:                              ;   in Loop: Header=BB20_29 Depth=1
	s_delay_alu instid0(VALU_DEP_3) | instskip(SKIP_1) | instid1(VALU_DEP_2)
	v_and_b32_e32 v17, 0x1000000, v9
	v_bfe_u32 v5, v9, 24, 1
	v_cmp_eq_u64_e32 vcc_lo, 0, v[17:18]
	s_delay_alu instid0(VALU_DEP_2)
	v_lshrrev_b64 v[9:10], v5, v[9:10]
	v_cndmask_b32_e32 v5, v11, v12, vcc_lo
; %bb.194:                              ;   in Loop: Header=BB20_29 Depth=1
	s_and_not1_saveexec_b32 s0, s0
; %bb.195:                              ;   in Loop: Header=BB20_29 Depth=1
	s_delay_alu instid0(VALU_DEP_2)
	v_bfe_u32 v5, v9, 23, 1
; %bb.196:                              ;   in Loop: Header=BB20_29 Depth=1
	s_or_b32 exec_lo, exec_lo, s0
	s_delay_alu instid0(VALU_DEP_3) | instskip(NEXT) | instid1(VALU_DEP_2)
	v_lshrrev_b64 v[9:10], 20, v[9:10]
	v_cmp_gt_i32_e32 vcc_lo, 16, v5
	v_cmp_ne_u32_e64 s0, 0, v5
	s_delay_alu instid0(VALU_DEP_3) | instskip(NEXT) | instid1(VALU_DEP_1)
	v_dual_cndmask_b32 v10, 0, v10 :: v_dual_cndmask_b32 v9, 7, v9
	v_cmp_ne_u64_e32 vcc_lo, 0, v[9:10]
                                        ; implicit-def: $vgpr10
	s_delay_alu instid0(VALU_DEP_3) | instskip(NEXT) | instid1(SALU_CYCLE_1)
	s_or_b32 s0, s0, vcc_lo
	s_and_saveexec_b32 s1, s0
	s_delay_alu instid0(SALU_CYCLE_1)
	s_xor_b32 s0, exec_lo, s1
; %bb.197:                              ;   in Loop: Header=BB20_29 Depth=1
	v_min_i32_e32 v5, 15, v5
	s_delay_alu instid0(VALU_DEP_1) | instskip(NEXT) | instid1(VALU_DEP_1)
	v_lshl_or_b32 v1, v5, 3, v1
	v_and_or_b32 v10, v9, 7, v1
                                        ; implicit-def: $vgpr1
; %bb.198:                              ;   in Loop: Header=BB20_29 Depth=1
	s_and_not1_saveexec_b32 s0, s0
; %bb.199:                              ;   in Loop: Header=BB20_29 Depth=1
	v_mov_b32_e32 v10, v1
; %bb.200:                              ;   in Loop: Header=BB20_29 Depth=1
	s_or_b32 exec_lo, exec_lo, s0
.LBB20_201:                             ;   in Loop: Header=BB20_29 Depth=1
	s_delay_alu instid0(SALU_CYCLE_1)
	s_or_b32 exec_lo, exec_lo, s16
.LBB20_202:                             ;   in Loop: Header=BB20_29 Depth=1
	s_and_not1_saveexec_b32 s0, s15
	s_delay_alu instid0(SALU_CYCLE_1)
	s_or_b32 exec_lo, exec_lo, s0
                                        ; implicit-def: $vgpr11
.LBB20_203:                             ;   in Loop: Header=BB20_29 Depth=1
	s_and_not1_saveexec_b32 s0, s14
; %bb.204:                              ;   in Loop: Header=BB20_29 Depth=1
	v_cmp_eq_u64_e32 vcc_lo, 0, v[17:18]
	v_or_b32_e32 v1, 0x7f, v11
	s_delay_alu instid0(VALU_DEP_1)
	v_cndmask_b32_e32 v10, v1, v10, vcc_lo
; %bb.205:                              ;   in Loop: Header=BB20_29 Depth=1
	s_or_b32 exec_lo, exec_lo, s0
	v_dual_mov_b32 v12, v18 :: v_dual_and_b32 v1, 0xffff0000, v6
	v_add_nc_u32_e32 v9, 10, v22
	s_mov_b32 s0, exec_lo
	s_delay_alu instid0(VALU_DEP_2) | instskip(SKIP_3) | instid1(VALU_DEP_2)
	v_dual_mul_f32 v1, v21, v1 :: v_dual_and_b32 v2, 0xffff0000, v2
	global_store_b8 v9, v10, s[2:3]
	v_bfe_u32 v5, v1, 16, 1
	v_cmp_o_f32_e32 vcc_lo, v1, v1
	v_add3_u32 v5, v1, v5, 0x7fff
	s_delay_alu instid0(VALU_DEP_1) | instskip(NEXT) | instid1(VALU_DEP_1)
	v_and_b32_e32 v5, 0xffff0000, v5
	v_cndmask_b32_e32 v1, 0x7fc00000, v5, vcc_lo
	s_delay_alu instid0(VALU_DEP_1) | instskip(NEXT) | instid1(VALU_DEP_1)
	v_mul_f32_e32 v1, v1, v2
	v_bfe_u32 v2, v1, 16, 1
	v_cmp_o_f32_e32 vcc_lo, v1, v1
	s_delay_alu instid0(VALU_DEP_2) | instskip(NEXT) | instid1(VALU_DEP_1)
	v_add3_u32 v2, v1, v2, 0x7fff
	v_and_b32_e32 v2, 0xffff0000, v2
	s_delay_alu instid0(VALU_DEP_1) | instskip(NEXT) | instid1(VALU_DEP_1)
	v_cndmask_b32_e32 v1, 0x7fc00000, v2, vcc_lo
	v_mul_f32_e32 v1, v23, v1
	s_delay_alu instid0(VALU_DEP_1) | instskip(NEXT) | instid1(VALU_DEP_1)
	v_minmax_f32 v1, v1, s13, 0xc3e00000
	v_lshrrev_b32_e32 v6, 24, v1
	v_and_b32_e32 v11, 0x7f800000, v1
	v_and_b32_e32 v17, 0x7fffff, v1
	s_delay_alu instid0(VALU_DEP_3) | instskip(NEXT) | instid1(VALU_DEP_1)
	v_and_b32_e32 v5, 0x80, v6
	v_or_b32_e32 v2, 0x7e, v5
	s_delay_alu instid0(VALU_DEP_4)
	v_cmpx_ne_u64_e32 0x7f800000, v[11:12]
	s_xor_b32 s14, exec_lo, s0
	s_cbranch_execz .LBB20_219
; %bb.206:                              ;   in Loop: Header=BB20_29 Depth=1
	v_dual_mov_b32 v10, v18 :: v_dual_and_b32 v9, 0x7fffffff, v1
	s_mov_b32 s0, exec_lo
	s_delay_alu instid0(VALU_DEP_1)
	v_cmpx_gt_u64_e32 0x43e00001, v[9:10]
	s_xor_b32 s15, exec_lo, s0
	s_cbranch_execz .LBB20_218
; %bb.207:                              ;   in Loop: Header=BB20_29 Depth=1
	v_mov_b32_e32 v2, 0
	s_mov_b32 s16, exec_lo
	v_cmpx_ne_u32_e32 0, v1
	s_cbranch_execz .LBB20_217
; %bb.208:                              ;   in Loop: Header=BB20_29 Depth=1
	v_bfe_u32 v6, v1, 23, 8
	s_delay_alu instid0(VALU_DEP_1) | instskip(SKIP_2) | instid1(VALU_DEP_3)
	v_sub_nc_u32_e64 v1, 0x79, v6 clamp
	v_cmp_eq_u32_e32 vcc_lo, 0, v6
	v_add_nc_u32_e32 v6, 0xffffff88, v6
	v_cndmask_b32_e64 v13, v1, 0x78, vcc_lo
	v_or_b32_e32 v1, 0x800000, v17
	s_delay_alu instid0(VALU_DEP_2) | instskip(NEXT) | instid1(VALU_DEP_2)
	v_add_nc_u32_e32 v2, 20, v13
	v_cndmask_b32_e32 v17, v1, v17, vcc_lo
	v_add_nc_u32_e32 v9, 19, v13
	s_delay_alu instid0(VALU_DEP_3) | instskip(NEXT) | instid1(VALU_DEP_1)
	v_lshlrev_b64 v[1:2], v2, -1
	v_not_b32_e32 v10, v2
	s_delay_alu instid0(VALU_DEP_2) | instskip(NEXT) | instid1(VALU_DEP_4)
	v_not_b32_e32 v14, v1
	v_lshlrev_b64 v[1:2], v9, 1
	s_delay_alu instid0(VALU_DEP_3) | instskip(SKIP_1) | instid1(VALU_DEP_4)
	v_and_b32_e32 v10, 0, v10
	v_lshrrev_b64 v[11:12], v13, v[17:18]
	v_and_b32_e32 v9, v17, v14
	s_delay_alu instid0(VALU_DEP_1) | instskip(NEXT) | instid1(VALU_DEP_3)
	v_cmp_eq_u64_e64 s0, v[9:10], v[1:2]
	v_and_b32_e32 v17, 0x100000, v11
	v_cndmask_b32_e64 v1, v6, 0xffffff89, vcc_lo
	v_lshrrev_b32_e32 v2, 23, v11
	s_delay_alu instid0(VALU_DEP_3) | instskip(NEXT) | instid1(VALU_DEP_2)
	v_cmp_eq_u64_e64 s1, 0, v[17:18]
	v_add3_u32 v9, v1, v13, v2
	s_delay_alu instid0(VALU_DEP_2) | instskip(NEXT) | instid1(VALU_DEP_1)
	s_and_b32 vcc_lo, s1, s0
	v_add_nc_u32_e32 v10, -1, v9
	v_subrev_co_ci_u32_e32 v6, vcc_lo, 0, v11, vcc_lo
	s_mov_b32 s0, exec_lo
	s_delay_alu instid0(VALU_DEP_1) | instskip(NEXT) | instid1(VALU_DEP_1)
	v_and_b32_e32 v1, 0xfffff, v6
                                        ; implicit-def: $vgpr6
	v_add_co_u32 v1, vcc_lo, v1, v11
	v_add_co_ci_u32_e32 v2, vcc_lo, 0, v12, vcc_lo
	v_cmpx_ne_u32_e32 0, v10
	s_xor_b32 s0, exec_lo, s0
; %bb.209:                              ;   in Loop: Header=BB20_29 Depth=1
	s_delay_alu instid0(VALU_DEP_3) | instskip(SKIP_1) | instid1(VALU_DEP_2)
	v_and_b32_e32 v17, 0x1000000, v1
	v_bfe_u32 v6, v1, 24, 1
	v_cmp_eq_u64_e32 vcc_lo, 0, v[17:18]
	s_delay_alu instid0(VALU_DEP_2)
	v_lshrrev_b64 v[1:2], v6, v[1:2]
	v_cndmask_b32_e32 v6, v9, v10, vcc_lo
; %bb.210:                              ;   in Loop: Header=BB20_29 Depth=1
	s_and_not1_saveexec_b32 s0, s0
; %bb.211:                              ;   in Loop: Header=BB20_29 Depth=1
	s_delay_alu instid0(VALU_DEP_2)
	v_bfe_u32 v6, v1, 23, 1
; %bb.212:                              ;   in Loop: Header=BB20_29 Depth=1
	s_or_b32 exec_lo, exec_lo, s0
	s_delay_alu instid0(VALU_DEP_3) | instskip(NEXT) | instid1(VALU_DEP_2)
	v_lshrrev_b64 v[1:2], 20, v[1:2]
	v_cmp_gt_i32_e32 vcc_lo, 16, v6
	v_cmp_ne_u32_e64 s0, 0, v6
	s_delay_alu instid0(VALU_DEP_3) | instskip(NEXT) | instid1(VALU_DEP_1)
	v_dual_cndmask_b32 v2, 0, v2 :: v_dual_cndmask_b32 v1, 7, v1
	v_cmp_ne_u64_e32 vcc_lo, 0, v[1:2]
                                        ; implicit-def: $vgpr2
	s_delay_alu instid0(VALU_DEP_3) | instskip(NEXT) | instid1(SALU_CYCLE_1)
	s_or_b32 s0, s0, vcc_lo
	s_and_saveexec_b32 s1, s0
	s_delay_alu instid0(SALU_CYCLE_1)
	s_xor_b32 s0, exec_lo, s1
; %bb.213:                              ;   in Loop: Header=BB20_29 Depth=1
	v_min_i32_e32 v2, 15, v6
	s_delay_alu instid0(VALU_DEP_1) | instskip(NEXT) | instid1(VALU_DEP_1)
	v_lshl_or_b32 v2, v2, 3, v5
                                        ; implicit-def: $vgpr5
	v_and_or_b32 v2, v1, 7, v2
; %bb.214:                              ;   in Loop: Header=BB20_29 Depth=1
	s_and_not1_saveexec_b32 s0, s0
; %bb.215:                              ;   in Loop: Header=BB20_29 Depth=1
	v_mov_b32_e32 v2, v5
; %bb.216:                              ;   in Loop: Header=BB20_29 Depth=1
	s_or_b32 exec_lo, exec_lo, s0
.LBB20_217:                             ;   in Loop: Header=BB20_29 Depth=1
	s_delay_alu instid0(SALU_CYCLE_1)
	s_or_b32 exec_lo, exec_lo, s16
.LBB20_218:                             ;   in Loop: Header=BB20_29 Depth=1
	s_and_not1_saveexec_b32 s0, s15
	s_delay_alu instid0(SALU_CYCLE_1)
	s_or_b32 exec_lo, exec_lo, s0
                                        ; implicit-def: $vgpr6
.LBB20_219:                             ;   in Loop: Header=BB20_29 Depth=1
	s_and_not1_saveexec_b32 s0, s14
; %bb.220:                              ;   in Loop: Header=BB20_29 Depth=1
	v_cmp_eq_u64_e32 vcc_lo, 0, v[17:18]
	v_or_b32_e32 v1, 0x7f, v6
	s_delay_alu instid0(VALU_DEP_1)
	v_cndmask_b32_e32 v2, v1, v2, vcc_lo
; %bb.221:                              ;   in Loop: Header=BB20_29 Depth=1
	s_or_b32 exec_lo, exec_lo, s0
	v_lshlrev_b32_e32 v1, 16, v7
	s_mov_b32 s0, exec_lo
	v_dual_mov_b32 v11, v18 :: v_dual_add_nc_u32 v12, 11, v22
	s_delay_alu instid0(VALU_DEP_2) | instskip(SKIP_3) | instid1(VALU_DEP_2)
	v_mul_f32_e32 v1, v21, v1
	global_store_b8 v12, v2, s[2:3]
	v_bfe_u32 v5, v1, 16, 1
	v_cmp_o_f32_e32 vcc_lo, v1, v1
	v_add3_u32 v5, v1, v5, 0x7fff
	s_delay_alu instid0(VALU_DEP_1) | instskip(NEXT) | instid1(VALU_DEP_1)
	v_and_b32_e32 v5, 0xffff0000, v5
	v_cndmask_b32_e32 v1, 0x7fc00000, v5, vcc_lo
	v_lshlrev_b32_e32 v5, 16, v3
	s_delay_alu instid0(VALU_DEP_1) | instskip(NEXT) | instid1(VALU_DEP_1)
	v_mul_f32_e32 v1, v1, v5
	v_bfe_u32 v5, v1, 16, 1
	v_cmp_o_f32_e32 vcc_lo, v1, v1
	s_delay_alu instid0(VALU_DEP_2) | instskip(NEXT) | instid1(VALU_DEP_1)
	v_add3_u32 v5, v1, v5, 0x7fff
	v_and_b32_e32 v5, 0xffff0000, v5
	s_delay_alu instid0(VALU_DEP_1) | instskip(NEXT) | instid1(VALU_DEP_1)
	v_cndmask_b32_e32 v1, 0x7fc00000, v5, vcc_lo
	v_mul_f32_e32 v1, v23, v1
	s_delay_alu instid0(VALU_DEP_1) | instskip(NEXT) | instid1(VALU_DEP_1)
	v_minmax_f32 v1, v1, s13, 0xc3e00000
	v_lshrrev_b32_e32 v9, 24, v1
	v_and_b32_e32 v10, 0x7f800000, v1
	v_and_b32_e32 v17, 0x7fffff, v1
	s_delay_alu instid0(VALU_DEP_3) | instskip(NEXT) | instid1(VALU_DEP_1)
	v_and_b32_e32 v5, 0x80, v9
	v_or_b32_e32 v6, 0x7e, v5
	s_delay_alu instid0(VALU_DEP_4)
	v_cmpx_ne_u64_e32 0x7f800000, v[10:11]
	s_xor_b32 s14, exec_lo, s0
	s_cbranch_execz .LBB20_235
; %bb.222:                              ;   in Loop: Header=BB20_29 Depth=1
	v_dual_mov_b32 v10, v18 :: v_dual_and_b32 v9, 0x7fffffff, v1
	s_mov_b32 s0, exec_lo
	s_delay_alu instid0(VALU_DEP_1)
	v_cmpx_gt_u64_e32 0x43e00001, v[9:10]
	s_xor_b32 s15, exec_lo, s0
	s_cbranch_execz .LBB20_234
; %bb.223:                              ;   in Loop: Header=BB20_29 Depth=1
	v_mov_b32_e32 v6, 0
	s_mov_b32 s16, exec_lo
	v_cmpx_ne_u32_e32 0, v1
	s_cbranch_execz .LBB20_233
; %bb.224:                              ;   in Loop: Header=BB20_29 Depth=1
	v_bfe_u32 v6, v1, 23, 8
	s_delay_alu instid0(VALU_DEP_1) | instskip(SKIP_2) | instid1(VALU_DEP_3)
	v_sub_nc_u32_e64 v1, 0x79, v6 clamp
	v_cmp_eq_u32_e32 vcc_lo, 0, v6
	v_add_nc_u32_e32 v6, 0xffffff88, v6
	v_cndmask_b32_e64 v13, v1, 0x78, vcc_lo
	v_or_b32_e32 v1, 0x800000, v17
	s_delay_alu instid0(VALU_DEP_2) | instskip(NEXT) | instid1(VALU_DEP_2)
	v_add_nc_u32_e32 v2, 20, v13
	v_cndmask_b32_e32 v17, v1, v17, vcc_lo
	v_add_nc_u32_e32 v9, 19, v13
	s_delay_alu instid0(VALU_DEP_3) | instskip(NEXT) | instid1(VALU_DEP_1)
	v_lshlrev_b64 v[1:2], v2, -1
	v_not_b32_e32 v10, v2
	s_delay_alu instid0(VALU_DEP_2) | instskip(NEXT) | instid1(VALU_DEP_4)
	v_not_b32_e32 v14, v1
	v_lshlrev_b64 v[1:2], v9, 1
	s_delay_alu instid0(VALU_DEP_3) | instskip(SKIP_1) | instid1(VALU_DEP_4)
	v_and_b32_e32 v10, 0, v10
	v_lshrrev_b64 v[11:12], v13, v[17:18]
	v_and_b32_e32 v9, v17, v14
	s_delay_alu instid0(VALU_DEP_1) | instskip(NEXT) | instid1(VALU_DEP_3)
	v_cmp_eq_u64_e64 s0, v[9:10], v[1:2]
	v_and_b32_e32 v17, 0x100000, v11
	v_cndmask_b32_e64 v1, v6, 0xffffff89, vcc_lo
	v_lshrrev_b32_e32 v2, 23, v11
	s_delay_alu instid0(VALU_DEP_3) | instskip(NEXT) | instid1(VALU_DEP_2)
	v_cmp_eq_u64_e64 s1, 0, v[17:18]
	v_add3_u32 v6, v1, v13, v2
	s_delay_alu instid0(VALU_DEP_2) | instskip(NEXT) | instid1(VALU_DEP_1)
	s_and_b32 vcc_lo, s1, s0
	v_add_nc_u32_e32 v10, -1, v6
	v_subrev_co_ci_u32_e32 v9, vcc_lo, 0, v11, vcc_lo
	s_mov_b32 s0, exec_lo
	s_delay_alu instid0(VALU_DEP_1) | instskip(NEXT) | instid1(VALU_DEP_1)
	v_and_b32_e32 v1, 0xfffff, v9
                                        ; implicit-def: $vgpr9
	v_add_co_u32 v1, vcc_lo, v1, v11
	v_add_co_ci_u32_e32 v2, vcc_lo, 0, v12, vcc_lo
	v_cmpx_ne_u32_e32 0, v10
	s_xor_b32 s0, exec_lo, s0
; %bb.225:                              ;   in Loop: Header=BB20_29 Depth=1
	s_delay_alu instid0(VALU_DEP_3) | instskip(SKIP_1) | instid1(VALU_DEP_2)
	v_and_b32_e32 v17, 0x1000000, v1
	v_bfe_u32 v9, v1, 24, 1
	v_cmp_eq_u64_e32 vcc_lo, 0, v[17:18]
	s_delay_alu instid0(VALU_DEP_2)
	v_lshrrev_b64 v[1:2], v9, v[1:2]
	v_cndmask_b32_e32 v9, v6, v10, vcc_lo
; %bb.226:                              ;   in Loop: Header=BB20_29 Depth=1
	s_and_not1_saveexec_b32 s0, s0
; %bb.227:                              ;   in Loop: Header=BB20_29 Depth=1
	s_delay_alu instid0(VALU_DEP_2)
	v_bfe_u32 v9, v1, 23, 1
; %bb.228:                              ;   in Loop: Header=BB20_29 Depth=1
	s_or_b32 exec_lo, exec_lo, s0
	s_delay_alu instid0(VALU_DEP_3) | instskip(NEXT) | instid1(VALU_DEP_2)
	v_lshrrev_b64 v[1:2], 20, v[1:2]
	v_cmp_gt_i32_e32 vcc_lo, 16, v9
	v_cmp_ne_u32_e64 s0, 0, v9
                                        ; implicit-def: $vgpr6
	s_delay_alu instid0(VALU_DEP_3) | instskip(NEXT) | instid1(VALU_DEP_1)
	v_dual_cndmask_b32 v2, 0, v2 :: v_dual_cndmask_b32 v1, 7, v1
	v_cmp_ne_u64_e32 vcc_lo, 0, v[1:2]
	s_delay_alu instid0(VALU_DEP_3) | instskip(NEXT) | instid1(SALU_CYCLE_1)
	s_or_b32 s0, s0, vcc_lo
	s_and_saveexec_b32 s1, s0
	s_delay_alu instid0(SALU_CYCLE_1)
	s_xor_b32 s0, exec_lo, s1
; %bb.229:                              ;   in Loop: Header=BB20_29 Depth=1
	v_min_i32_e32 v2, 15, v9
	s_delay_alu instid0(VALU_DEP_1) | instskip(NEXT) | instid1(VALU_DEP_1)
	v_lshl_or_b32 v2, v2, 3, v5
                                        ; implicit-def: $vgpr5
	v_and_or_b32 v6, v1, 7, v2
; %bb.230:                              ;   in Loop: Header=BB20_29 Depth=1
	s_and_not1_saveexec_b32 s0, s0
; %bb.231:                              ;   in Loop: Header=BB20_29 Depth=1
	v_mov_b32_e32 v6, v5
; %bb.232:                              ;   in Loop: Header=BB20_29 Depth=1
	s_or_b32 exec_lo, exec_lo, s0
.LBB20_233:                             ;   in Loop: Header=BB20_29 Depth=1
	s_delay_alu instid0(SALU_CYCLE_1)
	s_or_b32 exec_lo, exec_lo, s16
.LBB20_234:                             ;   in Loop: Header=BB20_29 Depth=1
	s_and_not1_saveexec_b32 s0, s15
	s_delay_alu instid0(SALU_CYCLE_1)
	s_or_b32 exec_lo, exec_lo, s0
                                        ; implicit-def: $vgpr9
.LBB20_235:                             ;   in Loop: Header=BB20_29 Depth=1
	s_and_not1_saveexec_b32 s0, s14
; %bb.236:                              ;   in Loop: Header=BB20_29 Depth=1
	v_cmp_eq_u64_e32 vcc_lo, 0, v[17:18]
	v_or_b32_e32 v1, 0x7f, v9
	s_delay_alu instid0(VALU_DEP_1)
	v_cndmask_b32_e32 v6, v1, v6, vcc_lo
; %bb.237:                              ;   in Loop: Header=BB20_29 Depth=1
	s_or_b32 exec_lo, exec_lo, s0
	v_dual_mov_b32 v10, v18 :: v_dual_and_b32 v1, 0xffff0000, v7
	v_add_nc_u32_e32 v7, 12, v22
	s_mov_b32 s0, exec_lo
	s_delay_alu instid0(VALU_DEP_2) | instskip(SKIP_2) | instid1(VALU_DEP_1)
	v_mul_f32_e32 v1, v21, v1
	global_store_b8 v7, v6, s[2:3]
	v_bfe_u32 v2, v1, 16, 1
	v_add3_u32 v2, v1, v2, 0x7fff
	s_delay_alu instid0(VALU_DEP_1) | instskip(SKIP_1) | instid1(VALU_DEP_2)
	v_and_b32_e32 v2, 0xffff0000, v2
	v_cmp_o_f32_e32 vcc_lo, v1, v1
	v_cndmask_b32_e32 v1, 0x7fc00000, v2, vcc_lo
	v_and_b32_e32 v2, 0xffff0000, v3
	s_delay_alu instid0(VALU_DEP_1) | instskip(NEXT) | instid1(VALU_DEP_1)
	v_mul_f32_e32 v1, v1, v2
	v_bfe_u32 v2, v1, 16, 1
	v_cmp_o_f32_e32 vcc_lo, v1, v1
	s_delay_alu instid0(VALU_DEP_2) | instskip(NEXT) | instid1(VALU_DEP_1)
	v_add3_u32 v2, v1, v2, 0x7fff
	v_and_b32_e32 v2, 0xffff0000, v2
	s_delay_alu instid0(VALU_DEP_1) | instskip(NEXT) | instid1(VALU_DEP_1)
	v_cndmask_b32_e32 v1, 0x7fc00000, v2, vcc_lo
	v_mul_f32_e32 v1, v23, v1
	s_delay_alu instid0(VALU_DEP_1) | instskip(NEXT) | instid1(VALU_DEP_1)
	v_minmax_f32 v1, v1, s13, 0xc3e00000
	v_lshrrev_b32_e32 v5, 24, v1
	v_and_b32_e32 v9, 0x7f800000, v1
	v_and_b32_e32 v17, 0x7fffff, v1
	s_delay_alu instid0(VALU_DEP_3) | instskip(NEXT) | instid1(VALU_DEP_1)
	v_and_b32_e32 v3, 0x80, v5
	v_or_b32_e32 v2, 0x7e, v3
	s_delay_alu instid0(VALU_DEP_4)
	v_cmpx_ne_u64_e32 0x7f800000, v[9:10]
	s_xor_b32 s14, exec_lo, s0
	s_cbranch_execz .LBB20_251
; %bb.238:                              ;   in Loop: Header=BB20_29 Depth=1
	v_dual_mov_b32 v6, v18 :: v_dual_and_b32 v5, 0x7fffffff, v1
	s_mov_b32 s0, exec_lo
	s_delay_alu instid0(VALU_DEP_1)
	v_cmpx_gt_u64_e32 0x43e00001, v[5:6]
	s_xor_b32 s15, exec_lo, s0
	s_cbranch_execz .LBB20_250
; %bb.239:                              ;   in Loop: Header=BB20_29 Depth=1
	v_mov_b32_e32 v2, 0
	s_mov_b32 s16, exec_lo
	v_cmpx_ne_u32_e32 0, v1
	s_cbranch_execz .LBB20_249
; %bb.240:                              ;   in Loop: Header=BB20_29 Depth=1
	v_bfe_u32 v7, v1, 23, 8
	s_delay_alu instid0(VALU_DEP_1) | instskip(SKIP_2) | instid1(VALU_DEP_3)
	v_sub_nc_u32_e64 v1, 0x79, v7 clamp
	v_cmp_eq_u32_e32 vcc_lo, 0, v7
	v_add_nc_u32_e32 v7, 0xffffff88, v7
	v_cndmask_b32_e64 v11, v1, 0x78, vcc_lo
	v_or_b32_e32 v1, 0x800000, v17
	s_delay_alu instid0(VALU_DEP_1) | instskip(SKIP_1) | instid1(VALU_DEP_2)
	v_dual_cndmask_b32 v17, v1, v17 :: v_dual_add_nc_u32 v2, 20, v11
	v_add_nc_u32_e32 v5, 19, v11
	v_lshlrev_b64 v[1:2], v2, -1
	s_delay_alu instid0(VALU_DEP_3) | instskip(NEXT) | instid1(VALU_DEP_2)
	v_lshrrev_b64 v[9:10], v11, v[17:18]
	v_not_b32_e32 v6, v2
	s_delay_alu instid0(VALU_DEP_3) | instskip(SKIP_1) | instid1(VALU_DEP_3)
	v_not_b32_e32 v12, v1
	v_lshlrev_b64 v[1:2], v5, 1
	v_and_b32_e32 v6, 0, v6
	s_delay_alu instid0(VALU_DEP_3) | instskip(SKIP_1) | instid1(VALU_DEP_2)
	v_and_b32_e32 v5, v17, v12
	v_and_b32_e32 v17, 0x100000, v9
	v_cmp_eq_u64_e64 s0, v[5:6], v[1:2]
	s_delay_alu instid0(VALU_DEP_2) | instskip(SKIP_2) | instid1(VALU_DEP_3)
	v_cmp_eq_u64_e64 s1, 0, v[17:18]
	v_cndmask_b32_e64 v1, v7, 0xffffff89, vcc_lo
	v_lshrrev_b32_e32 v2, 23, v9
	s_and_b32 vcc_lo, s1, s0
	s_delay_alu instid0(VALU_DEP_1) | instskip(SKIP_2) | instid1(VALU_DEP_2)
	v_add3_u32 v6, v1, v11, v2
	v_subrev_co_ci_u32_e32 v5, vcc_lo, 0, v9, vcc_lo
	s_mov_b32 s0, exec_lo
	v_add_nc_u32_e32 v7, -1, v6
	s_delay_alu instid0(VALU_DEP_2) | instskip(NEXT) | instid1(VALU_DEP_1)
	v_and_b32_e32 v1, 0xfffff, v5
                                        ; implicit-def: $vgpr5
	v_add_co_u32 v1, vcc_lo, v1, v9
	v_add_co_ci_u32_e32 v2, vcc_lo, 0, v10, vcc_lo
	s_delay_alu instid0(VALU_DEP_4)
	v_cmpx_ne_u32_e32 0, v7
	s_xor_b32 s0, exec_lo, s0
; %bb.241:                              ;   in Loop: Header=BB20_29 Depth=1
	s_delay_alu instid0(VALU_DEP_3) | instskip(SKIP_1) | instid1(VALU_DEP_2)
	v_and_b32_e32 v17, 0x1000000, v1
	v_bfe_u32 v5, v1, 24, 1
	v_cmp_eq_u64_e32 vcc_lo, 0, v[17:18]
	s_delay_alu instid0(VALU_DEP_2)
	v_lshrrev_b64 v[1:2], v5, v[1:2]
	v_cndmask_b32_e32 v5, v6, v7, vcc_lo
; %bb.242:                              ;   in Loop: Header=BB20_29 Depth=1
	s_and_not1_saveexec_b32 s0, s0
; %bb.243:                              ;   in Loop: Header=BB20_29 Depth=1
	s_delay_alu instid0(VALU_DEP_2)
	v_bfe_u32 v5, v1, 23, 1
; %bb.244:                              ;   in Loop: Header=BB20_29 Depth=1
	s_or_b32 exec_lo, exec_lo, s0
	s_delay_alu instid0(VALU_DEP_3) | instskip(NEXT) | instid1(VALU_DEP_2)
	v_lshrrev_b64 v[1:2], 20, v[1:2]
	v_cmp_gt_i32_e32 vcc_lo, 16, v5
	v_cmp_ne_u32_e64 s0, 0, v5
	s_delay_alu instid0(VALU_DEP_3) | instskip(NEXT) | instid1(VALU_DEP_1)
	v_dual_cndmask_b32 v2, 0, v2 :: v_dual_cndmask_b32 v1, 7, v1
	v_cmp_ne_u64_e32 vcc_lo, 0, v[1:2]
                                        ; implicit-def: $vgpr2
	s_delay_alu instid0(VALU_DEP_3) | instskip(NEXT) | instid1(SALU_CYCLE_1)
	s_or_b32 s0, s0, vcc_lo
	s_and_saveexec_b32 s1, s0
	s_delay_alu instid0(SALU_CYCLE_1)
	s_xor_b32 s0, exec_lo, s1
; %bb.245:                              ;   in Loop: Header=BB20_29 Depth=1
	v_min_i32_e32 v2, 15, v5
	s_delay_alu instid0(VALU_DEP_1) | instskip(NEXT) | instid1(VALU_DEP_1)
	v_lshl_or_b32 v2, v2, 3, v3
                                        ; implicit-def: $vgpr3
	v_and_or_b32 v2, v1, 7, v2
; %bb.246:                              ;   in Loop: Header=BB20_29 Depth=1
	s_and_not1_saveexec_b32 s0, s0
; %bb.247:                              ;   in Loop: Header=BB20_29 Depth=1
	v_mov_b32_e32 v2, v3
; %bb.248:                              ;   in Loop: Header=BB20_29 Depth=1
	s_or_b32 exec_lo, exec_lo, s0
.LBB20_249:                             ;   in Loop: Header=BB20_29 Depth=1
	s_delay_alu instid0(SALU_CYCLE_1)
	s_or_b32 exec_lo, exec_lo, s16
.LBB20_250:                             ;   in Loop: Header=BB20_29 Depth=1
	s_and_not1_saveexec_b32 s0, s15
	s_delay_alu instid0(SALU_CYCLE_1)
	s_or_b32 exec_lo, exec_lo, s0
                                        ; implicit-def: $vgpr5
.LBB20_251:                             ;   in Loop: Header=BB20_29 Depth=1
	s_and_not1_saveexec_b32 s0, s14
; %bb.252:                              ;   in Loop: Header=BB20_29 Depth=1
	v_cmp_eq_u64_e32 vcc_lo, 0, v[17:18]
	v_or_b32_e32 v1, 0x7f, v5
	s_delay_alu instid0(VALU_DEP_1)
	v_cndmask_b32_e32 v2, v1, v2, vcc_lo
; %bb.253:                              ;   in Loop: Header=BB20_29 Depth=1
	s_or_b32 exec_lo, exec_lo, s0
	v_dual_mov_b32 v10, v18 :: v_dual_lshlrev_b32 v1, 16, v8
	v_add_nc_u32_e32 v7, 13, v22
	s_mov_b32 s0, exec_lo
	s_delay_alu instid0(VALU_DEP_2) | instskip(SKIP_3) | instid1(VALU_DEP_2)
	v_mul_f32_e32 v1, v21, v1
	global_store_b8 v7, v2, s[2:3]
	v_bfe_u32 v3, v1, 16, 1
	v_cmp_o_f32_e32 vcc_lo, v1, v1
	v_add3_u32 v3, v1, v3, 0x7fff
	s_delay_alu instid0(VALU_DEP_1) | instskip(NEXT) | instid1(VALU_DEP_1)
	v_and_b32_e32 v3, 0xffff0000, v3
	v_cndmask_b32_e32 v1, 0x7fc00000, v3, vcc_lo
	v_lshlrev_b32_e32 v3, 16, v4
	s_delay_alu instid0(VALU_DEP_1) | instskip(NEXT) | instid1(VALU_DEP_1)
	v_mul_f32_e32 v1, v1, v3
	v_bfe_u32 v3, v1, 16, 1
	v_cmp_o_f32_e32 vcc_lo, v1, v1
	s_delay_alu instid0(VALU_DEP_2) | instskip(NEXT) | instid1(VALU_DEP_1)
	v_add3_u32 v3, v1, v3, 0x7fff
	v_and_b32_e32 v3, 0xffff0000, v3
	s_delay_alu instid0(VALU_DEP_1) | instskip(NEXT) | instid1(VALU_DEP_1)
	v_cndmask_b32_e32 v1, 0x7fc00000, v3, vcc_lo
	v_mul_f32_e32 v1, v23, v1
	s_delay_alu instid0(VALU_DEP_1) | instskip(NEXT) | instid1(VALU_DEP_1)
	v_minmax_f32 v1, v1, s13, 0xc3e00000
	v_lshrrev_b32_e32 v6, 24, v1
	v_and_b32_e32 v9, 0x7f800000, v1
	v_and_b32_e32 v17, 0x7fffff, v1
	s_delay_alu instid0(VALU_DEP_3) | instskip(NEXT) | instid1(VALU_DEP_1)
	v_and_b32_e32 v3, 0x80, v6
	v_or_b32_e32 v5, 0x7e, v3
	s_delay_alu instid0(VALU_DEP_4)
	v_cmpx_ne_u64_e32 0x7f800000, v[9:10]
	s_xor_b32 s14, exec_lo, s0
	s_cbranch_execz .LBB20_267
; %bb.254:                              ;   in Loop: Header=BB20_29 Depth=1
	v_dual_mov_b32 v7, v18 :: v_dual_and_b32 v6, 0x7fffffff, v1
	s_mov_b32 s0, exec_lo
	s_delay_alu instid0(VALU_DEP_1)
	v_cmpx_gt_u64_e32 0x43e00001, v[6:7]
	s_xor_b32 s15, exec_lo, s0
	s_cbranch_execz .LBB20_266
; %bb.255:                              ;   in Loop: Header=BB20_29 Depth=1
	v_mov_b32_e32 v5, 0
	s_mov_b32 s16, exec_lo
	v_cmpx_ne_u32_e32 0, v1
	s_cbranch_execz .LBB20_265
; %bb.256:                              ;   in Loop: Header=BB20_29 Depth=1
	v_bfe_u32 v7, v1, 23, 8
	s_delay_alu instid0(VALU_DEP_1) | instskip(SKIP_2) | instid1(VALU_DEP_3)
	v_sub_nc_u32_e64 v1, 0x79, v7 clamp
	v_cmp_eq_u32_e32 vcc_lo, 0, v7
	v_add_nc_u32_e32 v7, 0xffffff88, v7
	v_cndmask_b32_e64 v11, v1, 0x78, vcc_lo
	v_or_b32_e32 v1, 0x800000, v17
	s_delay_alu instid0(VALU_DEP_1) | instskip(SKIP_1) | instid1(VALU_DEP_2)
	v_dual_cndmask_b32 v17, v1, v17 :: v_dual_add_nc_u32 v2, 20, v11
	v_add_nc_u32_e32 v5, 19, v11
	v_lshlrev_b64 v[1:2], v2, -1
	s_delay_alu instid0(VALU_DEP_3) | instskip(NEXT) | instid1(VALU_DEP_2)
	v_lshrrev_b64 v[9:10], v11, v[17:18]
	v_not_b32_e32 v6, v2
	s_delay_alu instid0(VALU_DEP_3) | instskip(SKIP_1) | instid1(VALU_DEP_3)
	v_not_b32_e32 v12, v1
	v_lshlrev_b64 v[1:2], v5, 1
	v_and_b32_e32 v6, 0, v6
	s_delay_alu instid0(VALU_DEP_3) | instskip(SKIP_1) | instid1(VALU_DEP_2)
	v_and_b32_e32 v5, v17, v12
	v_and_b32_e32 v17, 0x100000, v9
	v_cmp_eq_u64_e64 s0, v[5:6], v[1:2]
	s_delay_alu instid0(VALU_DEP_2) | instskip(SKIP_2) | instid1(VALU_DEP_3)
	v_cmp_eq_u64_e64 s1, 0, v[17:18]
	v_cndmask_b32_e64 v1, v7, 0xffffff89, vcc_lo
	v_lshrrev_b32_e32 v2, 23, v9
	s_and_b32 vcc_lo, s1, s0
	s_delay_alu instid0(VALU_DEP_1) | instskip(SKIP_2) | instid1(VALU_DEP_2)
	v_add3_u32 v5, v1, v11, v2
	v_subrev_co_ci_u32_e32 v6, vcc_lo, 0, v9, vcc_lo
	s_mov_b32 s0, exec_lo
	v_add_nc_u32_e32 v7, -1, v5
	s_delay_alu instid0(VALU_DEP_2) | instskip(NEXT) | instid1(VALU_DEP_1)
	v_and_b32_e32 v1, 0xfffff, v6
                                        ; implicit-def: $vgpr6
	v_add_co_u32 v1, vcc_lo, v1, v9
	v_add_co_ci_u32_e32 v2, vcc_lo, 0, v10, vcc_lo
	s_delay_alu instid0(VALU_DEP_4)
	v_cmpx_ne_u32_e32 0, v7
	s_xor_b32 s0, exec_lo, s0
; %bb.257:                              ;   in Loop: Header=BB20_29 Depth=1
	s_delay_alu instid0(VALU_DEP_3) | instskip(SKIP_1) | instid1(VALU_DEP_2)
	v_and_b32_e32 v17, 0x1000000, v1
	v_bfe_u32 v6, v1, 24, 1
	v_cmp_eq_u64_e32 vcc_lo, 0, v[17:18]
	s_delay_alu instid0(VALU_DEP_2)
	v_lshrrev_b64 v[1:2], v6, v[1:2]
	v_cndmask_b32_e32 v6, v5, v7, vcc_lo
; %bb.258:                              ;   in Loop: Header=BB20_29 Depth=1
	s_and_not1_saveexec_b32 s0, s0
; %bb.259:                              ;   in Loop: Header=BB20_29 Depth=1
	s_delay_alu instid0(VALU_DEP_2)
	v_bfe_u32 v6, v1, 23, 1
; %bb.260:                              ;   in Loop: Header=BB20_29 Depth=1
	s_or_b32 exec_lo, exec_lo, s0
	s_delay_alu instid0(VALU_DEP_3) | instskip(NEXT) | instid1(VALU_DEP_2)
	v_lshrrev_b64 v[1:2], 20, v[1:2]
	v_cmp_gt_i32_e32 vcc_lo, 16, v6
	v_cmp_ne_u32_e64 s0, 0, v6
                                        ; implicit-def: $vgpr5
	s_delay_alu instid0(VALU_DEP_3) | instskip(NEXT) | instid1(VALU_DEP_1)
	v_dual_cndmask_b32 v2, 0, v2 :: v_dual_cndmask_b32 v1, 7, v1
	v_cmp_ne_u64_e32 vcc_lo, 0, v[1:2]
	s_delay_alu instid0(VALU_DEP_3) | instskip(NEXT) | instid1(SALU_CYCLE_1)
	s_or_b32 s0, s0, vcc_lo
	s_and_saveexec_b32 s1, s0
	s_delay_alu instid0(SALU_CYCLE_1)
	s_xor_b32 s0, exec_lo, s1
; %bb.261:                              ;   in Loop: Header=BB20_29 Depth=1
	v_min_i32_e32 v2, 15, v6
	s_delay_alu instid0(VALU_DEP_1) | instskip(NEXT) | instid1(VALU_DEP_1)
	v_lshl_or_b32 v2, v2, 3, v3
                                        ; implicit-def: $vgpr3
	v_and_or_b32 v5, v1, 7, v2
; %bb.262:                              ;   in Loop: Header=BB20_29 Depth=1
	s_and_not1_saveexec_b32 s0, s0
; %bb.263:                              ;   in Loop: Header=BB20_29 Depth=1
	v_mov_b32_e32 v5, v3
; %bb.264:                              ;   in Loop: Header=BB20_29 Depth=1
	s_or_b32 exec_lo, exec_lo, s0
.LBB20_265:                             ;   in Loop: Header=BB20_29 Depth=1
	s_delay_alu instid0(SALU_CYCLE_1)
	s_or_b32 exec_lo, exec_lo, s16
.LBB20_266:                             ;   in Loop: Header=BB20_29 Depth=1
	s_and_not1_saveexec_b32 s0, s15
	s_delay_alu instid0(SALU_CYCLE_1)
	s_or_b32 exec_lo, exec_lo, s0
                                        ; implicit-def: $vgpr6
.LBB20_267:                             ;   in Loop: Header=BB20_29 Depth=1
	s_and_not1_saveexec_b32 s0, s14
; %bb.268:                              ;   in Loop: Header=BB20_29 Depth=1
	v_cmp_eq_u64_e32 vcc_lo, 0, v[17:18]
	v_or_b32_e32 v1, 0x7f, v6
	s_delay_alu instid0(VALU_DEP_1)
	v_cndmask_b32_e32 v5, v1, v5, vcc_lo
; %bb.269:                              ;   in Loop: Header=BB20_29 Depth=1
	s_or_b32 exec_lo, exec_lo, s0
	v_and_b32_e32 v1, 0xffff0000, v8
	v_add_nc_u32_e32 v8, 14, v22
	s_mov_b32 s0, exec_lo
	v_mov_b32_e32 v7, v18
	s_delay_alu instid0(VALU_DEP_3) | instskip(SKIP_2) | instid1(VALU_DEP_1)
	v_mul_f32_e32 v1, v21, v1
	global_store_b8 v8, v5, s[2:3]
	v_bfe_u32 v2, v1, 16, 1
	v_add3_u32 v2, v1, v2, 0x7fff
	s_delay_alu instid0(VALU_DEP_1) | instskip(SKIP_1) | instid1(VALU_DEP_2)
	v_and_b32_e32 v2, 0xffff0000, v2
	v_cmp_o_f32_e32 vcc_lo, v1, v1
	v_cndmask_b32_e32 v1, 0x7fc00000, v2, vcc_lo
	v_and_b32_e32 v2, 0xffff0000, v4
	s_delay_alu instid0(VALU_DEP_1) | instskip(NEXT) | instid1(VALU_DEP_1)
	v_mul_f32_e32 v1, v1, v2
	v_bfe_u32 v2, v1, 16, 1
	v_cmp_o_f32_e32 vcc_lo, v1, v1
	s_delay_alu instid0(VALU_DEP_2) | instskip(NEXT) | instid1(VALU_DEP_1)
	v_add3_u32 v2, v1, v2, 0x7fff
	v_and_b32_e32 v2, 0xffff0000, v2
	s_delay_alu instid0(VALU_DEP_1) | instskip(NEXT) | instid1(VALU_DEP_1)
	v_cndmask_b32_e32 v1, 0x7fc00000, v2, vcc_lo
	v_mul_f32_e32 v1, v23, v1
	s_delay_alu instid0(VALU_DEP_1) | instskip(NEXT) | instid1(VALU_DEP_1)
	v_minmax_f32 v1, v1, s13, 0xc3e00000
	v_lshrrev_b32_e32 v4, 24, v1
	v_and_b32_e32 v6, 0x7f800000, v1
	v_and_b32_e32 v17, 0x7fffff, v1
	s_delay_alu instid0(VALU_DEP_3) | instskip(NEXT) | instid1(VALU_DEP_1)
	v_and_b32_e32 v3, 0x80, v4
	v_or_b32_e32 v2, 0x7e, v3
	s_delay_alu instid0(VALU_DEP_4)
	v_cmpx_ne_u64_e32 0x7f800000, v[6:7]
	s_xor_b32 s14, exec_lo, s0
	s_cbranch_execz .LBB20_283
; %bb.270:                              ;   in Loop: Header=BB20_29 Depth=1
	v_dual_mov_b32 v5, v18 :: v_dual_and_b32 v4, 0x7fffffff, v1
	s_mov_b32 s0, exec_lo
	s_delay_alu instid0(VALU_DEP_1)
	v_cmpx_gt_u64_e32 0x43e00001, v[4:5]
	s_xor_b32 s15, exec_lo, s0
	s_cbranch_execz .LBB20_282
; %bb.271:                              ;   in Loop: Header=BB20_29 Depth=1
	v_mov_b32_e32 v2, 0
	s_mov_b32 s16, exec_lo
	v_cmpx_ne_u32_e32 0, v1
	s_cbranch_execz .LBB20_281
; %bb.272:                              ;   in Loop: Header=BB20_29 Depth=1
	v_bfe_u32 v6, v1, 23, 8
	s_delay_alu instid0(VALU_DEP_1) | instskip(SKIP_2) | instid1(VALU_DEP_3)
	v_sub_nc_u32_e64 v1, 0x79, v6 clamp
	v_cmp_eq_u32_e32 vcc_lo, 0, v6
	v_add_nc_u32_e32 v6, 0xffffff88, v6
	v_cndmask_b32_e64 v9, v1, 0x78, vcc_lo
	v_or_b32_e32 v1, 0x800000, v17
	s_delay_alu instid0(VALU_DEP_2) | instskip(NEXT) | instid1(VALU_DEP_2)
	v_add_nc_u32_e32 v2, 20, v9
	v_cndmask_b32_e32 v17, v1, v17, vcc_lo
	v_add_nc_u32_e32 v4, 19, v9
	s_delay_alu instid0(VALU_DEP_3) | instskip(NEXT) | instid1(VALU_DEP_3)
	v_lshlrev_b64 v[1:2], v2, -1
	v_lshrrev_b64 v[7:8], v9, v[17:18]
	s_delay_alu instid0(VALU_DEP_2) | instskip(NEXT) | instid1(VALU_DEP_3)
	v_not_b32_e32 v5, v2
	v_not_b32_e32 v10, v1
	v_lshlrev_b64 v[1:2], v4, 1
	s_delay_alu instid0(VALU_DEP_3) | instskip(NEXT) | instid1(VALU_DEP_3)
	v_and_b32_e32 v5, 0, v5
	v_and_b32_e32 v4, v17, v10
	;; [unrolled: 1-line block ×3, first 2 shown]
	s_delay_alu instid0(VALU_DEP_2) | instskip(NEXT) | instid1(VALU_DEP_2)
	v_cmp_eq_u64_e64 s0, v[4:5], v[1:2]
	v_cmp_eq_u64_e64 s1, 0, v[17:18]
	v_cndmask_b32_e64 v1, v6, 0xffffff89, vcc_lo
	v_lshrrev_b32_e32 v2, 23, v7
	s_delay_alu instid0(VALU_DEP_3) | instskip(NEXT) | instid1(VALU_DEP_1)
	s_and_b32 vcc_lo, s1, s0
	v_add3_u32 v5, v1, v9, v2
	v_subrev_co_ci_u32_e32 v4, vcc_lo, 0, v7, vcc_lo
	s_mov_b32 s0, exec_lo
	s_delay_alu instid0(VALU_DEP_2) | instskip(NEXT) | instid1(VALU_DEP_2)
	v_add_nc_u32_e32 v6, -1, v5
	v_and_b32_e32 v1, 0xfffff, v4
                                        ; implicit-def: $vgpr4
	s_delay_alu instid0(VALU_DEP_1) | instskip(SKIP_1) | instid1(VALU_DEP_4)
	v_add_co_u32 v1, vcc_lo, v1, v7
	v_add_co_ci_u32_e32 v2, vcc_lo, 0, v8, vcc_lo
	v_cmpx_ne_u32_e32 0, v6
	s_xor_b32 s0, exec_lo, s0
; %bb.273:                              ;   in Loop: Header=BB20_29 Depth=1
	s_delay_alu instid0(VALU_DEP_3) | instskip(SKIP_1) | instid1(VALU_DEP_2)
	v_and_b32_e32 v17, 0x1000000, v1
	v_bfe_u32 v4, v1, 24, 1
	v_cmp_eq_u64_e32 vcc_lo, 0, v[17:18]
	s_delay_alu instid0(VALU_DEP_2)
	v_lshrrev_b64 v[1:2], v4, v[1:2]
	v_cndmask_b32_e32 v4, v5, v6, vcc_lo
; %bb.274:                              ;   in Loop: Header=BB20_29 Depth=1
	s_and_not1_saveexec_b32 s0, s0
; %bb.275:                              ;   in Loop: Header=BB20_29 Depth=1
	s_delay_alu instid0(VALU_DEP_2)
	v_bfe_u32 v4, v1, 23, 1
; %bb.276:                              ;   in Loop: Header=BB20_29 Depth=1
	s_or_b32 exec_lo, exec_lo, s0
	s_delay_alu instid0(VALU_DEP_3) | instskip(NEXT) | instid1(VALU_DEP_2)
	v_lshrrev_b64 v[1:2], 20, v[1:2]
	v_cmp_gt_i32_e32 vcc_lo, 16, v4
	v_cmp_ne_u32_e64 s0, 0, v4
	s_delay_alu instid0(VALU_DEP_3) | instskip(NEXT) | instid1(VALU_DEP_1)
	v_dual_cndmask_b32 v2, 0, v2 :: v_dual_cndmask_b32 v1, 7, v1
	v_cmp_ne_u64_e32 vcc_lo, 0, v[1:2]
                                        ; implicit-def: $vgpr2
	s_delay_alu instid0(VALU_DEP_3) | instskip(NEXT) | instid1(SALU_CYCLE_1)
	s_or_b32 s0, s0, vcc_lo
	s_and_saveexec_b32 s1, s0
	s_delay_alu instid0(SALU_CYCLE_1)
	s_xor_b32 s0, exec_lo, s1
; %bb.277:                              ;   in Loop: Header=BB20_29 Depth=1
	v_min_i32_e32 v2, 15, v4
	s_delay_alu instid0(VALU_DEP_1) | instskip(NEXT) | instid1(VALU_DEP_1)
	v_lshl_or_b32 v2, v2, 3, v3
                                        ; implicit-def: $vgpr3
	v_and_or_b32 v2, v1, 7, v2
; %bb.278:                              ;   in Loop: Header=BB20_29 Depth=1
	s_and_not1_saveexec_b32 s0, s0
; %bb.279:                              ;   in Loop: Header=BB20_29 Depth=1
	v_mov_b32_e32 v2, v3
; %bb.280:                              ;   in Loop: Header=BB20_29 Depth=1
	s_or_b32 exec_lo, exec_lo, s0
.LBB20_281:                             ;   in Loop: Header=BB20_29 Depth=1
	s_delay_alu instid0(SALU_CYCLE_1)
	s_or_b32 exec_lo, exec_lo, s16
.LBB20_282:                             ;   in Loop: Header=BB20_29 Depth=1
	s_and_not1_saveexec_b32 s0, s15
	s_delay_alu instid0(SALU_CYCLE_1)
	s_or_b32 exec_lo, exec_lo, s0
                                        ; implicit-def: $vgpr4
.LBB20_283:                             ;   in Loop: Header=BB20_29 Depth=1
	s_and_not1_saveexec_b32 s0, s14
	s_cbranch_execz .LBB20_28
; %bb.284:                              ;   in Loop: Header=BB20_29 Depth=1
	v_cmp_eq_u64_e32 vcc_lo, 0, v[17:18]
	v_or_b32_e32 v1, 0x7f, v4
	s_delay_alu instid0(VALU_DEP_1)
	v_cndmask_b32_e32 v2, v1, v2, vcc_lo
	s_branch .LBB20_28
.LBB20_285:
	s_nop 0
	s_sendmsg sendmsg(MSG_DEALLOC_VGPRS)
	s_endpgm
	.section	.rodata,"a",@progbits
	.p2align	6, 0x0
	.amdhsa_kernel _ZN4vllm32rms_norm_static_fp8_quant_kernelIN3c108BFloat16ENS1_13Float8_e4m3fnELi16EEEvPT0_PKT_iS8_PKffii
		.amdhsa_group_segment_fixed_size 132
		.amdhsa_private_segment_fixed_size 0
		.amdhsa_kernarg_size 312
		.amdhsa_user_sgpr_count 15
		.amdhsa_user_sgpr_dispatch_ptr 0
		.amdhsa_user_sgpr_queue_ptr 0
		.amdhsa_user_sgpr_kernarg_segment_ptr 1
		.amdhsa_user_sgpr_dispatch_id 0
		.amdhsa_user_sgpr_private_segment_size 0
		.amdhsa_wavefront_size32 1
		.amdhsa_uses_dynamic_stack 0
		.amdhsa_enable_private_segment 0
		.amdhsa_system_sgpr_workgroup_id_x 1
		.amdhsa_system_sgpr_workgroup_id_y 0
		.amdhsa_system_sgpr_workgroup_id_z 0
		.amdhsa_system_sgpr_workgroup_info 0
		.amdhsa_system_vgpr_workitem_id 0
		.amdhsa_next_free_vgpr 33
		.amdhsa_next_free_sgpr 20
		.amdhsa_reserve_vcc 1
		.amdhsa_float_round_mode_32 0
		.amdhsa_float_round_mode_16_64 0
		.amdhsa_float_denorm_mode_32 3
		.amdhsa_float_denorm_mode_16_64 3
		.amdhsa_dx10_clamp 1
		.amdhsa_ieee_mode 1
		.amdhsa_fp16_overflow 0
		.amdhsa_workgroup_processor_mode 1
		.amdhsa_memory_ordered 1
		.amdhsa_forward_progress 0
		.amdhsa_shared_vgpr_count 0
		.amdhsa_exception_fp_ieee_invalid_op 0
		.amdhsa_exception_fp_denorm_src 0
		.amdhsa_exception_fp_ieee_div_zero 0
		.amdhsa_exception_fp_ieee_overflow 0
		.amdhsa_exception_fp_ieee_underflow 0
		.amdhsa_exception_fp_ieee_inexact 0
		.amdhsa_exception_int_div_zero 0
	.end_amdhsa_kernel
	.section	.text._ZN4vllm32rms_norm_static_fp8_quant_kernelIN3c108BFloat16ENS1_13Float8_e4m3fnELi16EEEvPT0_PKT_iS8_PKffii,"axG",@progbits,_ZN4vllm32rms_norm_static_fp8_quant_kernelIN3c108BFloat16ENS1_13Float8_e4m3fnELi16EEEvPT0_PKT_iS8_PKffii,comdat
.Lfunc_end20:
	.size	_ZN4vllm32rms_norm_static_fp8_quant_kernelIN3c108BFloat16ENS1_13Float8_e4m3fnELi16EEEvPT0_PKT_iS8_PKffii, .Lfunc_end20-_ZN4vllm32rms_norm_static_fp8_quant_kernelIN3c108BFloat16ENS1_13Float8_e4m3fnELi16EEEvPT0_PKT_iS8_PKffii
                                        ; -- End function
	.section	.AMDGPU.csdata,"",@progbits
; Kernel info:
; codeLenInByte = 13608
; NumSgprs: 22
; NumVgprs: 33
; ScratchSize: 0
; MemoryBound: 0
; FloatMode: 240
; IeeeMode: 1
; LDSByteSize: 132 bytes/workgroup (compile time only)
; SGPRBlocks: 2
; VGPRBlocks: 4
; NumSGPRsForWavesPerEU: 22
; NumVGPRsForWavesPerEU: 33
; Occupancy: 16
; WaveLimiterHint : 0
; COMPUTE_PGM_RSRC2:SCRATCH_EN: 0
; COMPUTE_PGM_RSRC2:USER_SGPR: 15
; COMPUTE_PGM_RSRC2:TRAP_HANDLER: 0
; COMPUTE_PGM_RSRC2:TGID_X_EN: 1
; COMPUTE_PGM_RSRC2:TGID_Y_EN: 0
; COMPUTE_PGM_RSRC2:TGID_Z_EN: 0
; COMPUTE_PGM_RSRC2:TIDIG_COMP_CNT: 0
	.section	.text._ZN4vllm32rms_norm_static_fp8_quant_kernelIN3c108BFloat16ENS1_13Float8_e4m3fnELi8EEEvPT0_PKT_iS8_PKffii,"axG",@progbits,_ZN4vllm32rms_norm_static_fp8_quant_kernelIN3c108BFloat16ENS1_13Float8_e4m3fnELi8EEEvPT0_PKT_iS8_PKffii,comdat
	.protected	_ZN4vllm32rms_norm_static_fp8_quant_kernelIN3c108BFloat16ENS1_13Float8_e4m3fnELi8EEEvPT0_PKT_iS8_PKffii ; -- Begin function _ZN4vllm32rms_norm_static_fp8_quant_kernelIN3c108BFloat16ENS1_13Float8_e4m3fnELi8EEEvPT0_PKT_iS8_PKffii
	.globl	_ZN4vllm32rms_norm_static_fp8_quant_kernelIN3c108BFloat16ENS1_13Float8_e4m3fnELi8EEEvPT0_PKT_iS8_PKffii
	.p2align	8
	.type	_ZN4vllm32rms_norm_static_fp8_quant_kernelIN3c108BFloat16ENS1_13Float8_e4m3fnELi8EEEvPT0_PKT_iS8_PKffii,@function
_ZN4vllm32rms_norm_static_fp8_quant_kernelIN3c108BFloat16ENS1_13Float8_e4m3fnELi8EEEvPT0_PKT_iS8_PKffii: ; @_ZN4vllm32rms_norm_static_fp8_quant_kernelIN3c108BFloat16ENS1_13Float8_e4m3fnELi8EEEvPT0_PKT_iS8_PKffii
; %bb.0:
	s_clause 0x3
	s_load_b32 s2, s[0:1], 0x10
	s_load_b64 s[4:5], s[0:1], 0x8
	s_load_b32 s8, s[0:1], 0x44
	s_load_b32 s13, s[0:1], 0x30
	s_mov_b32 s3, 0
	s_waitcnt lgkmcnt(0)
	s_mul_i32 s2, s15, s2
	s_delay_alu instid0(SALU_CYCLE_1) | instskip(NEXT) | instid1(SALU_CYCLE_1)
	s_lshl_b64 s[6:7], s[2:3], 1
	s_add_u32 s10, s4, s6
	s_addc_u32 s11, s5, s7
	s_and_b32 s2, s10, 15
	s_and_b32 s12, s8, 0xffff
	s_cmp_lg_u64 s[2:3], 0
	s_cselect_b32 s2, -1, 0
	s_and_b32 s3, s13, 7
	s_delay_alu instid0(SALU_CYCLE_1) | instskip(SKIP_1) | instid1(SALU_CYCLE_1)
	s_cmp_lg_u32 s3, 0
	s_cselect_b32 s3, -1, 0
	s_or_b32 s2, s2, s3
	s_delay_alu instid0(SALU_CYCLE_1)
	s_and_b32 vcc_lo, exec_lo, s2
	s_cbranch_vccz .LBB21_14
; %bb.1:
	s_sub_i32 s2, 0, s10
	v_mov_b32_e32 v4, 0
	s_bfe_u32 s2, s2, 0x30001
	s_mov_b32 s3, exec_lo
	s_min_i32 s8, s2, s13
	s_delay_alu instid0(SALU_CYCLE_1)
	v_cmpx_gt_i32_e64 s8, v0
	s_cbranch_execz .LBB21_5
; %bb.2:
	v_dual_mov_b32 v4, 0 :: v_dual_lshlrev_b32 v1, 1, v0
	s_add_u32 s2, s4, s6
	s_addc_u32 s9, s5, s7
	v_mov_b32_e32 v3, v0
	s_delay_alu instid0(VALU_DEP_2) | instskip(NEXT) | instid1(VALU_DEP_1)
	v_add_co_u32 v1, s2, s2, v1
	v_add_co_ci_u32_e64 v2, null, s9, 0, s2
	s_mov_b32 s9, 0
	s_lshl_b32 s14, s12, 1
.LBB21_3:                               ; =>This Inner Loop Header: Depth=1
	global_load_u16 v5, v[1:2], off
	v_add_co_u32 v1, vcc_lo, v1, s14
	v_add_co_ci_u32_e32 v2, vcc_lo, 0, v2, vcc_lo
	s_waitcnt vmcnt(0)
	v_lshlrev_b32_e32 v5, 16, v5
	s_delay_alu instid0(VALU_DEP_1) | instskip(NEXT) | instid1(VALU_DEP_1)
	v_dual_fmac_f32 v4, v5, v5 :: v_dual_add_nc_u32 v3, s12, v3
	v_cmp_le_i32_e64 s2, s8, v3
	s_delay_alu instid0(VALU_DEP_1) | instskip(NEXT) | instid1(SALU_CYCLE_1)
	s_or_b32 s9, s2, s9
	s_and_not1_b32 exec_lo, exec_lo, s9
	s_cbranch_execnz .LBB21_3
; %bb.4:
	s_or_b32 exec_lo, exec_lo, s9
.LBB21_5:
	s_delay_alu instid0(SALU_CYCLE_1)
	s_or_b32 exec_lo, exec_lo, s3
	s_sub_i32 s3, s13, s8
	s_ashr_i32 s9, s8, 31
	s_ashr_i32 s2, s3, 31
	s_mov_b32 s16, exec_lo
	s_lshr_b32 s2, s2, 29
	s_delay_alu instid0(SALU_CYCLE_1) | instskip(NEXT) | instid1(SALU_CYCLE_1)
	s_add_i32 s2, s3, s2
	s_ashr_i32 s14, s2, 3
	s_delay_alu instid0(SALU_CYCLE_1)
	v_cmpx_gt_i32_e64 s14, v0
	s_cbranch_execz .LBB21_9
; %bb.6:
	v_lshlrev_b32_e32 v1, 4, v0
	s_lshl_b64 s[18:19], s[8:9], 1
	s_add_u32 s2, s4, s6
	s_addc_u32 s17, s5, s7
	s_add_u32 s2, s2, s18
	s_addc_u32 s17, s17, s19
	v_add_co_u32 v1, s2, s2, v1
	s_delay_alu instid0(VALU_DEP_1) | instskip(SKIP_1) | instid1(VALU_DEP_3)
	v_add_co_ci_u32_e64 v2, null, s17, 0, s2
	v_mov_b32_e32 v3, v0
	v_add_co_u32 v1, vcc_lo, v1, 8
	s_delay_alu instid0(VALU_DEP_3)
	v_add_co_ci_u32_e32 v2, vcc_lo, 0, v2, vcc_lo
	s_mov_b32 s17, 0
	s_lshl_b32 s18, s12, 4
	.p2align	6
.LBB21_7:                               ; =>This Inner Loop Header: Depth=1
	global_load_b128 v[5:8], v[1:2], off offset:-8
	v_add_co_u32 v1, vcc_lo, v1, s18
	v_add_co_ci_u32_e32 v2, vcc_lo, 0, v2, vcc_lo
	v_add_nc_u32_e32 v3, s12, v3
	s_delay_alu instid0(VALU_DEP_1) | instskip(NEXT) | instid1(VALU_DEP_1)
	v_cmp_le_i32_e64 s2, s14, v3
	s_or_b32 s17, s2, s17
	s_waitcnt vmcnt(0)
	v_lshlrev_b32_e32 v9, 16, v5
	v_and_b32_e32 v5, 0xffff0000, v5
	s_delay_alu instid0(VALU_DEP_2) | instskip(NEXT) | instid1(VALU_DEP_1)
	v_dual_fmac_f32 v4, v9, v9 :: v_dual_lshlrev_b32 v9, 16, v6
	v_dual_fmac_f32 v4, v5, v5 :: v_dual_and_b32 v5, 0xffff0000, v6
	v_lshlrev_b32_e32 v6, 16, v7
	s_delay_alu instid0(VALU_DEP_2) | instskip(NEXT) | instid1(VALU_DEP_1)
	v_fmac_f32_e32 v4, v9, v9
	v_dual_fmac_f32 v4, v5, v5 :: v_dual_and_b32 v5, 0xffff0000, v7
	s_delay_alu instid0(VALU_DEP_1) | instskip(SKIP_1) | instid1(VALU_DEP_2)
	v_fmac_f32_e32 v4, v6, v6
	v_lshlrev_b32_e32 v6, 16, v8
	v_dual_fmac_f32 v4, v5, v5 :: v_dual_and_b32 v5, 0xffff0000, v8
	s_delay_alu instid0(VALU_DEP_1) | instskip(NEXT) | instid1(VALU_DEP_1)
	v_fmac_f32_e32 v4, v6, v6
	v_fmac_f32_e32 v4, v5, v5
	s_and_not1_b32 exec_lo, exec_lo, s17
	s_cbranch_execnz .LBB21_7
; %bb.8:
	s_or_b32 exec_lo, exec_lo, s17
.LBB21_9:
	s_delay_alu instid0(SALU_CYCLE_1) | instskip(SKIP_2) | instid1(VALU_DEP_1)
	s_or_b32 exec_lo, exec_lo, s16
	v_lshl_add_u32 v1, s14, 3, v0
	s_mov_b32 s14, exec_lo
	v_cmpx_gt_i32_e64 s3, v1
	s_cbranch_execz .LBB21_13
; %bb.10:
	v_ashrrev_i32_e32 v2, 31, v1
	s_lshl_b64 s[8:9], s[8:9], 1
	s_add_u32 s2, s4, s6
	s_addc_u32 s16, s5, s7
	s_add_u32 s2, s2, s8
	v_lshlrev_b64 v[2:3], 1, v[1:2]
	s_addc_u32 s8, s16, s9
	s_lshl_b32 s9, s12, 1
	s_delay_alu instid0(VALU_DEP_1) | instskip(NEXT) | instid1(VALU_DEP_2)
	v_add_co_u32 v2, vcc_lo, s2, v2
	v_add_co_ci_u32_e32 v3, vcc_lo, s8, v3, vcc_lo
	s_mov_b32 s8, 0
.LBB21_11:                              ; =>This Inner Loop Header: Depth=1
	global_load_u16 v5, v[2:3], off
	v_add_nc_u32_e32 v1, s12, v1
	v_add_co_u32 v2, vcc_lo, v2, s9
	v_add_co_ci_u32_e32 v3, vcc_lo, 0, v3, vcc_lo
	s_delay_alu instid0(VALU_DEP_3) | instskip(NEXT) | instid1(VALU_DEP_1)
	v_cmp_le_i32_e64 s2, s3, v1
	s_or_b32 s8, s2, s8
	s_waitcnt vmcnt(0)
	v_lshlrev_b32_e32 v5, 16, v5
	s_delay_alu instid0(VALU_DEP_1)
	v_fmac_f32_e32 v4, v5, v5
	s_and_not1_b32 exec_lo, exec_lo, s8
	s_cbranch_execnz .LBB21_11
; %bb.12:
	s_or_b32 exec_lo, exec_lo, s8
.LBB21_13:
	s_delay_alu instid0(SALU_CYCLE_1)
	s_or_b32 exec_lo, exec_lo, s14
	s_branch .LBB21_20
.LBB21_14:
                                        ; implicit-def: $vgpr4
	s_cbranch_execz .LBB21_20
; %bb.15:
	v_mov_b32_e32 v4, 0
	s_ashr_i32 s8, s13, 3
	s_mov_b32 s3, exec_lo
	v_cmpx_gt_i32_e64 s8, v0
	s_cbranch_execz .LBB21_19
; %bb.16:
	v_dual_mov_b32 v4, 0 :: v_dual_lshlrev_b32 v1, 4, v0
	s_add_u32 s2, s4, s6
	s_addc_u32 s4, s5, s7
	v_mov_b32_e32 v3, v0
	s_delay_alu instid0(VALU_DEP_2) | instskip(NEXT) | instid1(VALU_DEP_1)
	v_add_co_u32 v1, s2, s2, v1
	v_add_co_ci_u32_e64 v2, null, s4, 0, s2
	s_mov_b32 s4, 0
	s_delay_alu instid0(VALU_DEP_2) | instskip(NEXT) | instid1(VALU_DEP_2)
	v_add_co_u32 v1, vcc_lo, v1, 8
	v_add_co_ci_u32_e32 v2, vcc_lo, 0, v2, vcc_lo
	s_lshl_b32 s5, s12, 4
	.p2align	6
.LBB21_17:                              ; =>This Inner Loop Header: Depth=1
	global_load_b128 v[5:8], v[1:2], off offset:-8
	v_add_co_u32 v1, vcc_lo, v1, s5
	v_add_co_ci_u32_e32 v2, vcc_lo, 0, v2, vcc_lo
	v_add_nc_u32_e32 v3, s12, v3
	s_delay_alu instid0(VALU_DEP_1) | instskip(NEXT) | instid1(VALU_DEP_1)
	v_cmp_le_i32_e64 s2, s8, v3
	s_or_b32 s4, s2, s4
	s_waitcnt vmcnt(0)
	v_lshlrev_b32_e32 v9, 16, v5
	v_and_b32_e32 v5, 0xffff0000, v5
	s_delay_alu instid0(VALU_DEP_2) | instskip(NEXT) | instid1(VALU_DEP_1)
	v_dual_fmac_f32 v4, v9, v9 :: v_dual_lshlrev_b32 v9, 16, v6
	v_dual_fmac_f32 v4, v5, v5 :: v_dual_and_b32 v5, 0xffff0000, v6
	v_lshlrev_b32_e32 v6, 16, v7
	s_delay_alu instid0(VALU_DEP_2) | instskip(NEXT) | instid1(VALU_DEP_1)
	v_fmac_f32_e32 v4, v9, v9
	v_dual_fmac_f32 v4, v5, v5 :: v_dual_and_b32 v5, 0xffff0000, v7
	s_delay_alu instid0(VALU_DEP_1) | instskip(SKIP_1) | instid1(VALU_DEP_2)
	v_fmac_f32_e32 v4, v6, v6
	v_lshlrev_b32_e32 v6, 16, v8
	v_dual_fmac_f32 v4, v5, v5 :: v_dual_and_b32 v5, 0xffff0000, v8
	s_delay_alu instid0(VALU_DEP_1) | instskip(NEXT) | instid1(VALU_DEP_1)
	v_fmac_f32_e32 v4, v6, v6
	v_fmac_f32_e32 v4, v5, v5
	s_and_not1_b32 exec_lo, exec_lo, s4
	s_cbranch_execnz .LBB21_17
; %bb.18:
	s_or_b32 exec_lo, exec_lo, s4
.LBB21_19:
	s_delay_alu instid0(SALU_CYCLE_1)
	s_or_b32 exec_lo, exec_lo, s3
.LBB21_20:
	v_mbcnt_lo_u32_b32 v1, -1, 0
	v_and_b32_e32 v3, 0x3e0, v0
	s_mov_b32 s2, exec_lo
	s_delay_alu instid0(VALU_DEP_2) | instskip(NEXT) | instid1(VALU_DEP_2)
	v_cmp_ne_u32_e32 vcc_lo, 31, v1
	v_sub_nc_u32_e64 v12, s12, v3 clamp
	v_add_nc_u32_e32 v3, 1, v1
	v_add_co_ci_u32_e32 v2, vcc_lo, 0, v1, vcc_lo
	v_cmp_gt_u32_e32 vcc_lo, 30, v1
	s_delay_alu instid0(VALU_DEP_2)
	v_lshlrev_b32_e32 v2, 2, v2
	v_cndmask_b32_e64 v6, 0, 1, vcc_lo
	v_cmp_lt_u32_e32 vcc_lo, v3, v12
	ds_bpermute_b32 v5, v2, v4
	s_waitcnt lgkmcnt(0)
	v_dual_add_f32 v7, v4, v5 :: v_dual_lshlrev_b32 v6, 1, v6
	s_delay_alu instid0(VALU_DEP_1) | instskip(NEXT) | instid1(VALU_DEP_2)
	v_cndmask_b32_e32 v7, v4, v7, vcc_lo
	v_add_lshl_u32 v5, v6, v1, 2
	v_cmp_gt_u32_e32 vcc_lo, 28, v1
	ds_bpermute_b32 v6, v5, v7
	v_cndmask_b32_e64 v4, 0, 1, vcc_lo
	s_delay_alu instid0(VALU_DEP_1) | instskip(SKIP_1) | instid1(VALU_DEP_1)
	v_lshlrev_b32_e32 v8, 2, v4
	v_add_nc_u32_e32 v4, 2, v1
	v_cmp_lt_u32_e32 vcc_lo, v4, v12
	s_waitcnt lgkmcnt(0)
	v_add_f32_e32 v9, v7, v6
	v_add_lshl_u32 v6, v8, v1, 2
	s_delay_alu instid0(VALU_DEP_2) | instskip(SKIP_2) | instid1(VALU_DEP_1)
	v_cndmask_b32_e32 v9, v7, v9, vcc_lo
	v_cmp_gt_u32_e32 vcc_lo, 24, v1
	v_cndmask_b32_e64 v7, 0, 1, vcc_lo
	v_lshlrev_b32_e32 v10, 3, v7
	ds_bpermute_b32 v8, v6, v9
	v_add_nc_u32_e32 v7, 4, v1
	s_delay_alu instid0(VALU_DEP_1) | instskip(SKIP_3) | instid1(VALU_DEP_2)
	v_cmp_lt_u32_e32 vcc_lo, v7, v12
	s_waitcnt lgkmcnt(0)
	v_add_f32_e32 v11, v9, v8
	v_add_lshl_u32 v8, v10, v1, 2
	v_cndmask_b32_e32 v11, v9, v11, vcc_lo
	v_cmp_gt_u32_e32 vcc_lo, 16, v1
	ds_bpermute_b32 v10, v8, v11
	v_cndmask_b32_e64 v9, 0, 1, vcc_lo
	s_delay_alu instid0(VALU_DEP_1) | instskip(SKIP_1) | instid1(VALU_DEP_1)
	v_lshlrev_b32_e32 v13, 4, v9
	v_add_nc_u32_e32 v9, 8, v1
	v_cmp_lt_u32_e32 vcc_lo, v9, v12
	s_waitcnt lgkmcnt(0)
	v_add_f32_e32 v14, v11, v10
	v_add_lshl_u32 v10, v13, v1, 2
	s_delay_alu instid0(VALU_DEP_2)
	v_cndmask_b32_e32 v13, v11, v14, vcc_lo
	v_add_nc_u32_e32 v11, 16, v1
	ds_bpermute_b32 v14, v10, v13
	v_cmp_lt_u32_e32 vcc_lo, v11, v12
	s_waitcnt lgkmcnt(0)
	v_add_f32_e32 v14, v13, v14
	s_delay_alu instid0(VALU_DEP_1)
	v_cndmask_b32_e32 v12, v13, v14, vcc_lo
	v_cmpx_eq_u32_e32 0, v1
	s_cbranch_execz .LBB21_22
; %bb.21:
	v_lshrrev_b32_e32 v13, 3, v0
	s_delay_alu instid0(VALU_DEP_1)
	v_and_b32_e32 v13, 0x7c, v13
	ds_store_b32 v13, v12
.LBB21_22:
	s_or_b32 exec_lo, exec_lo, s2
	s_delay_alu instid0(SALU_CYCLE_1)
	s_mov_b32 s2, exec_lo
	s_waitcnt lgkmcnt(0)
	s_barrier
	buffer_gl0_inv
	v_cmpx_gt_u32_e32 32, v0
	s_cbranch_execz .LBB21_24
; %bb.23:
	v_lshlrev_b32_e32 v1, 2, v1
	s_add_i32 s3, s12, 31
	s_delay_alu instid0(SALU_CYCLE_1) | instskip(NEXT) | instid1(SALU_CYCLE_1)
	s_lshr_b32 s3, s3, 5
	v_cmp_gt_u32_e32 vcc_lo, s3, v3
	ds_load_b32 v1, v1
	s_waitcnt lgkmcnt(0)
	ds_bpermute_b32 v2, v2, v1
	s_waitcnt lgkmcnt(0)
	v_add_f32_e32 v2, v1, v2
	s_delay_alu instid0(VALU_DEP_1) | instskip(SKIP_4) | instid1(VALU_DEP_1)
	v_cndmask_b32_e32 v1, v1, v2, vcc_lo
	v_cmp_gt_u32_e32 vcc_lo, s3, v4
	ds_bpermute_b32 v2, v5, v1
	s_waitcnt lgkmcnt(0)
	v_add_f32_e32 v2, v1, v2
	v_cndmask_b32_e32 v1, v1, v2, vcc_lo
	v_cmp_gt_u32_e32 vcc_lo, s3, v7
	ds_bpermute_b32 v2, v6, v1
	s_waitcnt lgkmcnt(0)
	v_add_f32_e32 v2, v1, v2
	s_delay_alu instid0(VALU_DEP_1) | instskip(SKIP_4) | instid1(VALU_DEP_1)
	v_cndmask_b32_e32 v1, v1, v2, vcc_lo
	v_cmp_gt_u32_e32 vcc_lo, s3, v9
	ds_bpermute_b32 v2, v8, v1
	s_waitcnt lgkmcnt(0)
	v_add_f32_e32 v2, v1, v2
	v_cndmask_b32_e32 v1, v1, v2, vcc_lo
	v_cmp_gt_u32_e32 vcc_lo, s3, v11
	ds_bpermute_b32 v2, v10, v1
	s_waitcnt lgkmcnt(0)
	v_add_f32_e32 v2, v1, v2
	s_delay_alu instid0(VALU_DEP_1)
	v_cndmask_b32_e32 v12, v1, v2, vcc_lo
.LBB21_24:
	s_or_b32 exec_lo, exec_lo, s2
	s_delay_alu instid0(SALU_CYCLE_1)
	s_mov_b32 s2, exec_lo
	v_cmpx_eq_u32_e32 0, v0
	s_cbranch_execz .LBB21_26
; %bb.25:
	v_cvt_f32_i32_e32 v1, s13
	s_load_b32 s3, s[0:1], 0x28
	s_delay_alu instid0(VALU_DEP_1) | instskip(SKIP_1) | instid1(VALU_DEP_2)
	v_div_scale_f32 v2, null, v1, v1, v12
	v_div_scale_f32 v5, vcc_lo, v12, v1, v12
	v_rcp_f32_e32 v3, v2
	s_waitcnt_depctr 0xfff
	v_fma_f32 v4, -v2, v3, 1.0
	s_delay_alu instid0(VALU_DEP_1) | instskip(NEXT) | instid1(VALU_DEP_1)
	v_fmac_f32_e32 v3, v4, v3
	v_mul_f32_e32 v4, v5, v3
	s_delay_alu instid0(VALU_DEP_1) | instskip(NEXT) | instid1(VALU_DEP_1)
	v_fma_f32 v6, -v2, v4, v5
	v_fmac_f32_e32 v4, v6, v3
	s_delay_alu instid0(VALU_DEP_1) | instskip(NEXT) | instid1(VALU_DEP_1)
	v_fma_f32 v2, -v2, v4, v5
	v_div_fmas_f32 v2, v2, v3, v4
	s_delay_alu instid0(VALU_DEP_1) | instskip(SKIP_1) | instid1(VALU_DEP_1)
	v_div_fixup_f32 v1, v2, v1, v12
	s_waitcnt lgkmcnt(0)
	v_add_f32_e32 v1, s3, v1
	s_delay_alu instid0(VALU_DEP_1) | instskip(SKIP_1) | instid1(VALU_DEP_2)
	v_mul_f32_e32 v2, 0x4b800000, v1
	v_cmp_gt_f32_e32 vcc_lo, 0x800000, v1
	v_cndmask_b32_e32 v1, v1, v2, vcc_lo
	s_delay_alu instid0(VALU_DEP_1) | instskip(SKIP_2) | instid1(VALU_DEP_1)
	v_rsq_f32_e32 v1, v1
	s_waitcnt_depctr 0xfff
	v_mul_f32_e32 v2, 0x45800000, v1
	v_dual_cndmask_b32 v1, v1, v2 :: v_dual_mov_b32 v2, 0
	ds_store_b32 v2, v1 offset:128
.LBB21_26:
	s_or_b32 exec_lo, exec_lo, s2
	s_ashr_i32 s2, s13, 31
	s_waitcnt lgkmcnt(0)
	s_lshr_b32 s2, s2, 29
	s_barrier
	s_add_i32 s2, s13, s2
	buffer_gl0_inv
	s_ashr_i32 s8, s2, 3
	s_mov_b32 s2, exec_lo
	v_cmpx_gt_i32_e64 s8, v0
	s_cbranch_execz .LBB21_157
; %bb.27:
	s_clause 0x1
	s_load_b128 s[4:7], s[0:1], 0x18
	s_load_b64 s[2:3], s[0:1], 0x0
	s_mul_i32 s15, s15, s13
	s_lshl_b32 s9, s12, 4
	v_lshl_add_u32 v14, v0, 3, s15
	s_mov_b32 s13, 0x43e00000
	v_mov_b32_e32 v10, 0
	v_lshlrev_b32_e32 v16, 4, v0
	ds_load_b32 v13, v10 offset:128
	s_waitcnt lgkmcnt(0)
	s_load_b32 s7, s[6:7], 0x0
	s_lshl_b32 s6, s12, 3
	s_waitcnt lgkmcnt(0)
	v_div_scale_f32 v1, null, s7, s7, 1.0
	v_div_scale_f32 v4, vcc_lo, 1.0, s7, 1.0
	s_delay_alu instid0(VALU_DEP_2) | instskip(SKIP_2) | instid1(VALU_DEP_1)
	v_rcp_f32_e32 v2, v1
	s_waitcnt_depctr 0xfff
	v_fma_f32 v3, -v1, v2, 1.0
	v_fmac_f32_e32 v2, v3, v2
	s_delay_alu instid0(VALU_DEP_1) | instskip(NEXT) | instid1(VALU_DEP_1)
	v_mul_f32_e32 v3, v4, v2
	v_fma_f32 v5, -v1, v3, v4
	s_delay_alu instid0(VALU_DEP_1) | instskip(NEXT) | instid1(VALU_DEP_1)
	v_fmac_f32_e32 v3, v5, v2
	v_fma_f32 v1, -v1, v3, v4
	s_delay_alu instid0(VALU_DEP_1) | instskip(NEXT) | instid1(VALU_DEP_1)
	v_div_fmas_f32 v1, v1, v2, v3
	v_div_fixup_f32 v15, v1, s7, 1.0
	s_mov_b32 s7, 0
	s_branch .LBB21_29
.LBB21_28:                              ;   in Loop: Header=BB21_29 Depth=1
	s_or_b32 exec_lo, exec_lo, s0
	v_add_nc_u32_e32 v0, s12, v0
	s_add_u32 s4, s4, s9
	v_add_nc_u32_e32 v1, 7, v14
	v_add_nc_u32_e32 v14, s6, v14
	s_addc_u32 s5, s5, 0
	v_cmp_le_i32_e32 vcc_lo, s8, v0
	s_add_u32 s10, s10, s9
	s_addc_u32 s11, s11, 0
	global_store_b8 v1, v2, s[2:3]
	s_or_b32 s7, vcc_lo, s7
	s_delay_alu instid0(SALU_CYCLE_1)
	s_and_not1_b32 exec_lo, exec_lo, s7
	s_cbranch_execz .LBB21_157
.LBB21_29:                              ; =>This Inner Loop Header: Depth=1
	v_add_co_u32 v1, s0, s10, v16
	s_delay_alu instid0(VALU_DEP_1) | instskip(SKIP_3) | instid1(VALU_DEP_1)
	v_add_co_ci_u32_e64 v2, null, s11, 0, s0
	v_mov_b32_e32 v20, v10
	global_load_b128 v[5:8], v[1:2], off
	v_add_co_u32 v1, s0, s4, v16
	v_add_co_ci_u32_e64 v2, null, s5, 0, s0
	s_mov_b32 s0, exec_lo
	global_load_b128 v[1:4], v[1:2], off
	s_waitcnt vmcnt(1)
	v_lshlrev_b32_e32 v9, 16, v5
	s_delay_alu instid0(VALU_DEP_1) | instskip(NEXT) | instid1(VALU_DEP_1)
	v_mul_f32_e32 v9, v13, v9
	v_bfe_u32 v11, v9, 16, 1
	v_cmp_o_f32_e32 vcc_lo, v9, v9
	s_delay_alu instid0(VALU_DEP_2) | instskip(NEXT) | instid1(VALU_DEP_1)
	v_add3_u32 v11, v9, v11, 0x7fff
	v_and_b32_e32 v11, 0xffff0000, v11
	s_delay_alu instid0(VALU_DEP_1) | instskip(SKIP_2) | instid1(VALU_DEP_1)
	v_cndmask_b32_e32 v9, 0x7fc00000, v11, vcc_lo
	s_waitcnt vmcnt(0)
	v_lshlrev_b32_e32 v11, 16, v1
	v_mul_f32_e32 v9, v9, v11
	s_delay_alu instid0(VALU_DEP_1) | instskip(SKIP_1) | instid1(VALU_DEP_2)
	v_bfe_u32 v11, v9, 16, 1
	v_cmp_o_f32_e32 vcc_lo, v9, v9
	v_add3_u32 v11, v9, v11, 0x7fff
	s_delay_alu instid0(VALU_DEP_1) | instskip(NEXT) | instid1(VALU_DEP_1)
	v_and_b32_e32 v11, 0xffff0000, v11
	v_cndmask_b32_e32 v9, 0x7fc00000, v11, vcc_lo
	s_delay_alu instid0(VALU_DEP_1) | instskip(NEXT) | instid1(VALU_DEP_1)
	v_mul_f32_e32 v9, v15, v9
	v_minmax_f32 v11, v9, s13, 0xc3e00000
	s_delay_alu instid0(VALU_DEP_1) | instskip(SKIP_2) | instid1(VALU_DEP_3)
	v_lshrrev_b32_e32 v18, 24, v11
	v_and_b32_e32 v19, 0x7f800000, v11
	v_and_b32_e32 v9, 0x7fffff, v11
	;; [unrolled: 1-line block ×3, first 2 shown]
	s_delay_alu instid0(VALU_DEP_1) | instskip(NEXT) | instid1(VALU_DEP_4)
	v_or_b32_e32 v12, 0x7e, v17
	v_cmpx_ne_u64_e32 0x7f800000, v[19:20]
	s_xor_b32 s14, exec_lo, s0
	s_cbranch_execz .LBB21_43
; %bb.30:                               ;   in Loop: Header=BB21_29 Depth=1
	v_dual_mov_b32 v19, v10 :: v_dual_and_b32 v18, 0x7fffffff, v11
	s_mov_b32 s0, exec_lo
	s_delay_alu instid0(VALU_DEP_1)
	v_cmpx_gt_u64_e32 0x43e00001, v[18:19]
	s_xor_b32 s15, exec_lo, s0
	s_cbranch_execz .LBB21_42
; %bb.31:                               ;   in Loop: Header=BB21_29 Depth=1
	v_mov_b32_e32 v12, 0
	s_mov_b32 s16, exec_lo
	v_cmpx_ne_u32_e32 0, v11
	s_cbranch_execz .LBB21_41
; %bb.32:                               ;   in Loop: Header=BB21_29 Depth=1
	v_bfe_u32 v22, v11, 23, 8
	s_delay_alu instid0(VALU_DEP_1) | instskip(SKIP_2) | instid1(VALU_DEP_3)
	v_sub_nc_u32_e64 v11, 0x79, v22 clamp
	v_cmp_eq_u32_e32 vcc_lo, 0, v22
	v_add_nc_u32_e32 v22, 0xffffff88, v22
	v_cndmask_b32_e64 v23, v11, 0x78, vcc_lo
	v_or_b32_e32 v11, 0x800000, v9
	s_delay_alu instid0(VALU_DEP_1) | instskip(SKIP_1) | instid1(VALU_DEP_2)
	v_dual_cndmask_b32 v9, v11, v9 :: v_dual_add_nc_u32 v12, 20, v23
	v_add_nc_u32_e32 v18, 19, v23
	v_lshlrev_b64 v[11:12], v12, -1
	s_delay_alu instid0(VALU_DEP_3) | instskip(NEXT) | instid1(VALU_DEP_2)
	v_lshrrev_b64 v[20:21], v23, v[9:10]
	v_not_b32_e32 v19, v12
	s_delay_alu instid0(VALU_DEP_3) | instskip(SKIP_1) | instid1(VALU_DEP_3)
	v_not_b32_e32 v24, v11
	v_lshlrev_b64 v[11:12], v18, 1
	v_and_b32_e32 v19, 0, v19
	s_delay_alu instid0(VALU_DEP_3) | instskip(SKIP_1) | instid1(VALU_DEP_2)
	v_and_b32_e32 v18, v9, v24
	v_and_b32_e32 v9, 0x100000, v20
	v_cmp_eq_u64_e64 s0, v[18:19], v[11:12]
	s_delay_alu instid0(VALU_DEP_2) | instskip(SKIP_2) | instid1(VALU_DEP_3)
	v_cmp_eq_u64_e64 s1, 0, v[9:10]
	v_cndmask_b32_e64 v9, v22, 0xffffff89, vcc_lo
	v_lshrrev_b32_e32 v11, 23, v20
	s_and_b32 vcc_lo, s1, s0
	s_delay_alu instid0(VALU_DEP_1) | instskip(SKIP_2) | instid1(VALU_DEP_2)
	v_add3_u32 v18, v9, v23, v11
	v_subrev_co_ci_u32_e32 v12, vcc_lo, 0, v20, vcc_lo
	s_mov_b32 s0, exec_lo
	v_add_nc_u32_e32 v19, -1, v18
	s_delay_alu instid0(VALU_DEP_2) | instskip(NEXT) | instid1(VALU_DEP_1)
	v_and_b32_e32 v9, 0xfffff, v12
	v_add_co_u32 v11, vcc_lo, v9, v20
	v_add_co_ci_u32_e32 v12, vcc_lo, 0, v21, vcc_lo
                                        ; implicit-def: $vgpr9
	s_delay_alu instid0(VALU_DEP_4)
	v_cmpx_ne_u32_e32 0, v19
	s_xor_b32 s0, exec_lo, s0
; %bb.33:                               ;   in Loop: Header=BB21_29 Depth=1
	s_delay_alu instid0(VALU_DEP_3) | instskip(SKIP_1) | instid1(VALU_DEP_2)
	v_and_b32_e32 v9, 0x1000000, v11
	v_bfe_u32 v20, v11, 24, 1
	v_cmp_eq_u64_e32 vcc_lo, 0, v[9:10]
	s_delay_alu instid0(VALU_DEP_2)
	v_lshrrev_b64 v[11:12], v20, v[11:12]
	v_cndmask_b32_e32 v9, v18, v19, vcc_lo
; %bb.34:                               ;   in Loop: Header=BB21_29 Depth=1
	s_and_not1_saveexec_b32 s0, s0
; %bb.35:                               ;   in Loop: Header=BB21_29 Depth=1
	s_delay_alu instid0(VALU_DEP_2)
	v_bfe_u32 v9, v11, 23, 1
; %bb.36:                               ;   in Loop: Header=BB21_29 Depth=1
	s_or_b32 exec_lo, exec_lo, s0
	s_delay_alu instid0(VALU_DEP_3) | instskip(NEXT) | instid1(VALU_DEP_2)
	v_lshrrev_b64 v[11:12], 20, v[11:12]
	v_cmp_gt_i32_e32 vcc_lo, 16, v9
	v_cmp_ne_u32_e64 s0, 0, v9
	s_delay_alu instid0(VALU_DEP_3) | instskip(NEXT) | instid1(VALU_DEP_1)
	v_dual_cndmask_b32 v12, 0, v12 :: v_dual_cndmask_b32 v11, 7, v11
	v_cmp_ne_u64_e32 vcc_lo, 0, v[11:12]
                                        ; implicit-def: $vgpr12
	s_delay_alu instid0(VALU_DEP_3) | instskip(NEXT) | instid1(SALU_CYCLE_1)
	s_or_b32 s0, s0, vcc_lo
	s_and_saveexec_b32 s1, s0
	s_delay_alu instid0(SALU_CYCLE_1)
	s_xor_b32 s0, exec_lo, s1
; %bb.37:                               ;   in Loop: Header=BB21_29 Depth=1
	v_min_i32_e32 v9, 15, v9
	s_delay_alu instid0(VALU_DEP_1) | instskip(NEXT) | instid1(VALU_DEP_1)
	v_lshl_or_b32 v9, v9, 3, v17
                                        ; implicit-def: $vgpr17
	v_and_or_b32 v12, v11, 7, v9
; %bb.38:                               ;   in Loop: Header=BB21_29 Depth=1
	s_and_not1_saveexec_b32 s0, s0
; %bb.39:                               ;   in Loop: Header=BB21_29 Depth=1
	v_mov_b32_e32 v12, v17
; %bb.40:                               ;   in Loop: Header=BB21_29 Depth=1
	s_or_b32 exec_lo, exec_lo, s0
.LBB21_41:                              ;   in Loop: Header=BB21_29 Depth=1
	s_delay_alu instid0(SALU_CYCLE_1)
	s_or_b32 exec_lo, exec_lo, s16
.LBB21_42:                              ;   in Loop: Header=BB21_29 Depth=1
	s_and_not1_saveexec_b32 s0, s15
	s_delay_alu instid0(SALU_CYCLE_1)
	s_or_b32 exec_lo, exec_lo, s0
                                        ; implicit-def: $vgpr18
.LBB21_43:                              ;   in Loop: Header=BB21_29 Depth=1
	s_and_not1_saveexec_b32 s0, s14
; %bb.44:                               ;   in Loop: Header=BB21_29 Depth=1
	v_cmp_eq_u64_e32 vcc_lo, 0, v[9:10]
	v_or_b32_e32 v11, 0x7f, v18
	s_delay_alu instid0(VALU_DEP_1)
	v_cndmask_b32_e32 v12, v11, v12, vcc_lo
; %bb.45:                               ;   in Loop: Header=BB21_29 Depth=1
	s_or_b32 exec_lo, exec_lo, s0
	v_and_b32_e32 v5, 0xffff0000, v5
	v_and_b32_e32 v1, 0xffff0000, v1
	v_mov_b32_e32 v19, v10
	global_store_b8 v14, v12, s[2:3]
	s_mov_b32 s0, exec_lo
	v_mul_f32_e32 v5, v13, v5
	s_delay_alu instid0(VALU_DEP_1) | instskip(SKIP_1) | instid1(VALU_DEP_2)
	v_bfe_u32 v9, v5, 16, 1
	v_cmp_o_f32_e32 vcc_lo, v5, v5
	v_add3_u32 v9, v5, v9, 0x7fff
	s_delay_alu instid0(VALU_DEP_1) | instskip(NEXT) | instid1(VALU_DEP_1)
	v_and_b32_e32 v9, 0xffff0000, v9
	v_cndmask_b32_e32 v5, 0x7fc00000, v9, vcc_lo
	s_delay_alu instid0(VALU_DEP_1) | instskip(NEXT) | instid1(VALU_DEP_1)
	v_mul_f32_e32 v1, v5, v1
	v_bfe_u32 v5, v1, 16, 1
	v_cmp_o_f32_e32 vcc_lo, v1, v1
	s_delay_alu instid0(VALU_DEP_2) | instskip(NEXT) | instid1(VALU_DEP_1)
	v_add3_u32 v5, v1, v5, 0x7fff
	v_and_b32_e32 v5, 0xffff0000, v5
	s_delay_alu instid0(VALU_DEP_1) | instskip(NEXT) | instid1(VALU_DEP_1)
	v_cndmask_b32_e32 v1, 0x7fc00000, v5, vcc_lo
	v_mul_f32_e32 v1, v15, v1
	s_delay_alu instid0(VALU_DEP_1) | instskip(NEXT) | instid1(VALU_DEP_1)
	v_minmax_f32 v11, v1, s13, 0xc3e00000
	v_and_b32_e32 v18, 0x7f800000, v11
	v_lshrrev_b32_e32 v17, 24, v11
	v_and_b32_e32 v9, 0x7fffff, v11
	s_delay_alu instid0(VALU_DEP_2) | instskip(NEXT) | instid1(VALU_DEP_1)
	v_and_b32_e32 v1, 0x80, v17
	v_or_b32_e32 v5, 0x7e, v1
	v_cmpx_ne_u64_e32 0x7f800000, v[18:19]
	s_xor_b32 s14, exec_lo, s0
	s_cbranch_execz .LBB21_59
; %bb.46:                               ;   in Loop: Header=BB21_29 Depth=1
	v_dual_mov_b32 v18, v10 :: v_dual_and_b32 v17, 0x7fffffff, v11
	s_mov_b32 s0, exec_lo
	s_delay_alu instid0(VALU_DEP_1)
	v_cmpx_gt_u64_e32 0x43e00001, v[17:18]
	s_xor_b32 s15, exec_lo, s0
	s_cbranch_execz .LBB21_58
; %bb.47:                               ;   in Loop: Header=BB21_29 Depth=1
	v_mov_b32_e32 v5, 0
	s_mov_b32 s16, exec_lo
	v_cmpx_ne_u32_e32 0, v11
	s_cbranch_execz .LBB21_57
; %bb.48:                               ;   in Loop: Header=BB21_29 Depth=1
	v_bfe_u32 v5, v11, 23, 8
	s_delay_alu instid0(VALU_DEP_1) | instskip(SKIP_2) | instid1(VALU_DEP_3)
	v_sub_nc_u32_e64 v11, 0x79, v5 clamp
	v_cmp_eq_u32_e32 vcc_lo, 0, v5
	v_add_nc_u32_e32 v5, 0xffffff88, v5
	v_cndmask_b32_e64 v17, v11, 0x78, vcc_lo
	v_or_b32_e32 v11, 0x800000, v9
	s_delay_alu instid0(VALU_DEP_3) | instskip(NEXT) | instid1(VALU_DEP_3)
	v_cndmask_b32_e64 v5, v5, 0xffffff89, vcc_lo
	v_add_nc_u32_e32 v12, 20, v17
	s_delay_alu instid0(VALU_DEP_3) | instskip(SKIP_1) | instid1(VALU_DEP_3)
	v_cndmask_b32_e32 v9, v11, v9, vcc_lo
	v_add_nc_u32_e32 v20, 19, v17
	v_lshlrev_b64 v[11:12], v12, -1
	s_delay_alu instid0(VALU_DEP_3) | instskip(NEXT) | instid1(VALU_DEP_2)
	v_lshrrev_b64 v[18:19], v17, v[9:10]
	v_not_b32_e32 v21, v12
	s_delay_alu instid0(VALU_DEP_3) | instskip(SKIP_1) | instid1(VALU_DEP_3)
	v_not_b32_e32 v22, v11
	v_lshlrev_b64 v[11:12], v20, 1
	v_and_b32_e32 v21, 0, v21
	s_delay_alu instid0(VALU_DEP_3) | instskip(SKIP_1) | instid1(VALU_DEP_2)
	v_and_b32_e32 v20, v9, v22
	v_and_b32_e32 v9, 0x100000, v18
	v_cmp_eq_u64_e64 s0, v[20:21], v[11:12]
	s_delay_alu instid0(VALU_DEP_2) | instskip(SKIP_1) | instid1(VALU_DEP_1)
	v_cmp_eq_u64_e64 s1, 0, v[9:10]
	v_lshrrev_b32_e32 v9, 23, v18
	v_add3_u32 v5, v5, v17, v9
	s_delay_alu instid0(VALU_DEP_3) | instskip(SKIP_2) | instid1(VALU_DEP_2)
	s_and_b32 vcc_lo, s1, s0
	s_mov_b32 s0, exec_lo
	v_subrev_co_ci_u32_e32 v11, vcc_lo, 0, v18, vcc_lo
	v_add_nc_u32_e32 v17, -1, v5
	s_delay_alu instid0(VALU_DEP_2) | instskip(NEXT) | instid1(VALU_DEP_1)
	v_and_b32_e32 v9, 0xfffff, v11
	v_add_co_u32 v11, vcc_lo, v9, v18
	v_add_co_ci_u32_e32 v12, vcc_lo, 0, v19, vcc_lo
                                        ; implicit-def: $vgpr9
	s_delay_alu instid0(VALU_DEP_4)
	v_cmpx_ne_u32_e32 0, v17
	s_xor_b32 s0, exec_lo, s0
; %bb.49:                               ;   in Loop: Header=BB21_29 Depth=1
	s_delay_alu instid0(VALU_DEP_3) | instskip(SKIP_1) | instid1(VALU_DEP_2)
	v_and_b32_e32 v9, 0x1000000, v11
	v_bfe_u32 v18, v11, 24, 1
	v_cmp_eq_u64_e32 vcc_lo, 0, v[9:10]
	s_delay_alu instid0(VALU_DEP_2)
	v_lshrrev_b64 v[11:12], v18, v[11:12]
	v_cndmask_b32_e32 v9, v5, v17, vcc_lo
; %bb.50:                               ;   in Loop: Header=BB21_29 Depth=1
	s_and_not1_saveexec_b32 s0, s0
; %bb.51:                               ;   in Loop: Header=BB21_29 Depth=1
	s_delay_alu instid0(VALU_DEP_2)
	v_bfe_u32 v9, v11, 23, 1
; %bb.52:                               ;   in Loop: Header=BB21_29 Depth=1
	s_or_b32 exec_lo, exec_lo, s0
	s_delay_alu instid0(VALU_DEP_3) | instskip(NEXT) | instid1(VALU_DEP_2)
	v_lshrrev_b64 v[11:12], 20, v[11:12]
	v_cmp_gt_i32_e32 vcc_lo, 16, v9
	v_cmp_ne_u32_e64 s0, 0, v9
                                        ; implicit-def: $vgpr5
	s_delay_alu instid0(VALU_DEP_3) | instskip(NEXT) | instid1(VALU_DEP_1)
	v_dual_cndmask_b32 v12, 0, v12 :: v_dual_cndmask_b32 v11, 7, v11
	v_cmp_ne_u64_e32 vcc_lo, 0, v[11:12]
	s_delay_alu instid0(VALU_DEP_3) | instskip(NEXT) | instid1(SALU_CYCLE_1)
	s_or_b32 s0, s0, vcc_lo
	s_and_saveexec_b32 s1, s0
	s_delay_alu instid0(SALU_CYCLE_1)
	s_xor_b32 s0, exec_lo, s1
; %bb.53:                               ;   in Loop: Header=BB21_29 Depth=1
	v_min_i32_e32 v5, 15, v9
	s_delay_alu instid0(VALU_DEP_1) | instskip(NEXT) | instid1(VALU_DEP_1)
	v_lshl_or_b32 v1, v5, 3, v1
	v_and_or_b32 v5, v11, 7, v1
                                        ; implicit-def: $vgpr1
; %bb.54:                               ;   in Loop: Header=BB21_29 Depth=1
	s_and_not1_saveexec_b32 s0, s0
; %bb.55:                               ;   in Loop: Header=BB21_29 Depth=1
	v_mov_b32_e32 v5, v1
; %bb.56:                               ;   in Loop: Header=BB21_29 Depth=1
	s_or_b32 exec_lo, exec_lo, s0
.LBB21_57:                              ;   in Loop: Header=BB21_29 Depth=1
	s_delay_alu instid0(SALU_CYCLE_1)
	s_or_b32 exec_lo, exec_lo, s16
.LBB21_58:                              ;   in Loop: Header=BB21_29 Depth=1
	s_and_not1_saveexec_b32 s0, s15
	s_delay_alu instid0(SALU_CYCLE_1)
	s_or_b32 exec_lo, exec_lo, s0
                                        ; implicit-def: $vgpr17
.LBB21_59:                              ;   in Loop: Header=BB21_29 Depth=1
	s_and_not1_saveexec_b32 s0, s14
; %bb.60:                               ;   in Loop: Header=BB21_29 Depth=1
	v_cmp_eq_u64_e32 vcc_lo, 0, v[9:10]
	v_or_b32_e32 v1, 0x7f, v17
	s_delay_alu instid0(VALU_DEP_1)
	v_cndmask_b32_e32 v5, v1, v5, vcc_lo
; %bb.61:                               ;   in Loop: Header=BB21_29 Depth=1
	s_or_b32 exec_lo, exec_lo, s0
	v_lshlrev_b32_e32 v1, 16, v6
	v_mov_b32_e32 v19, v10
	s_mov_b32 s0, exec_lo
	s_delay_alu instid0(VALU_DEP_2) | instskip(SKIP_3) | instid1(VALU_DEP_2)
	v_dual_mul_f32 v1, v13, v1 :: v_dual_add_nc_u32 v20, 1, v14
	global_store_b8 v20, v5, s[2:3]
	v_bfe_u32 v9, v1, 16, 1
	v_cmp_o_f32_e32 vcc_lo, v1, v1
	v_add3_u32 v9, v1, v9, 0x7fff
	s_delay_alu instid0(VALU_DEP_1) | instskip(NEXT) | instid1(VALU_DEP_1)
	v_and_b32_e32 v9, 0xffff0000, v9
	v_cndmask_b32_e32 v1, 0x7fc00000, v9, vcc_lo
	v_lshlrev_b32_e32 v9, 16, v2
	s_delay_alu instid0(VALU_DEP_1) | instskip(NEXT) | instid1(VALU_DEP_1)
	v_mul_f32_e32 v1, v1, v9
	v_bfe_u32 v9, v1, 16, 1
	v_cmp_o_f32_e32 vcc_lo, v1, v1
	s_delay_alu instid0(VALU_DEP_2) | instskip(NEXT) | instid1(VALU_DEP_1)
	v_add3_u32 v9, v1, v9, 0x7fff
	v_and_b32_e32 v9, 0xffff0000, v9
	s_delay_alu instid0(VALU_DEP_1) | instskip(NEXT) | instid1(VALU_DEP_1)
	v_cndmask_b32_e32 v1, 0x7fc00000, v9, vcc_lo
	v_mul_f32_e32 v1, v15, v1
	s_delay_alu instid0(VALU_DEP_1) | instskip(NEXT) | instid1(VALU_DEP_1)
	v_minmax_f32 v11, v1, s13, 0xc3e00000
	v_lshrrev_b32_e32 v17, 24, v11
	v_and_b32_e32 v18, 0x7f800000, v11
	v_and_b32_e32 v9, 0x7fffff, v11
	s_delay_alu instid0(VALU_DEP_3) | instskip(NEXT) | instid1(VALU_DEP_1)
	v_and_b32_e32 v1, 0x80, v17
	v_or_b32_e32 v12, 0x7e, v1
	s_delay_alu instid0(VALU_DEP_4)
	v_cmpx_ne_u64_e32 0x7f800000, v[18:19]
	s_xor_b32 s14, exec_lo, s0
	s_cbranch_execz .LBB21_75
; %bb.62:                               ;   in Loop: Header=BB21_29 Depth=1
	v_dual_mov_b32 v18, v10 :: v_dual_and_b32 v17, 0x7fffffff, v11
	s_mov_b32 s0, exec_lo
	s_delay_alu instid0(VALU_DEP_1)
	v_cmpx_gt_u64_e32 0x43e00001, v[17:18]
	s_xor_b32 s15, exec_lo, s0
	s_cbranch_execz .LBB21_74
; %bb.63:                               ;   in Loop: Header=BB21_29 Depth=1
	v_mov_b32_e32 v12, 0
	s_mov_b32 s16, exec_lo
	v_cmpx_ne_u32_e32 0, v11
	s_cbranch_execz .LBB21_73
; %bb.64:                               ;   in Loop: Header=BB21_29 Depth=1
	v_bfe_u32 v5, v11, 23, 8
	s_delay_alu instid0(VALU_DEP_1) | instskip(SKIP_2) | instid1(VALU_DEP_3)
	v_sub_nc_u32_e64 v11, 0x79, v5 clamp
	v_cmp_eq_u32_e32 vcc_lo, 0, v5
	v_add_nc_u32_e32 v5, 0xffffff88, v5
	v_cndmask_b32_e64 v21, v11, 0x78, vcc_lo
	v_or_b32_e32 v11, 0x800000, v9
	s_delay_alu instid0(VALU_DEP_3) | instskip(NEXT) | instid1(VALU_DEP_3)
	v_cndmask_b32_e64 v5, v5, 0xffffff89, vcc_lo
	v_add_nc_u32_e32 v12, 20, v21
	s_delay_alu instid0(VALU_DEP_3) | instskip(SKIP_1) | instid1(VALU_DEP_3)
	v_cndmask_b32_e32 v9, v11, v9, vcc_lo
	v_add_nc_u32_e32 v17, 19, v21
	v_lshlrev_b64 v[11:12], v12, -1
	s_delay_alu instid0(VALU_DEP_1) | instskip(NEXT) | instid1(VALU_DEP_2)
	v_not_b32_e32 v18, v12
	v_not_b32_e32 v22, v11
	s_delay_alu instid0(VALU_DEP_4) | instskip(NEXT) | instid1(VALU_DEP_3)
	v_lshlrev_b64 v[11:12], v17, 1
	v_and_b32_e32 v18, 0, v18
	v_lshrrev_b64 v[19:20], v21, v[9:10]
	s_delay_alu instid0(VALU_DEP_4) | instskip(NEXT) | instid1(VALU_DEP_1)
	v_and_b32_e32 v17, v9, v22
	v_cmp_eq_u64_e64 s0, v[17:18], v[11:12]
	s_delay_alu instid0(VALU_DEP_3) | instskip(NEXT) | instid1(VALU_DEP_1)
	v_and_b32_e32 v9, 0x100000, v19
	v_cmp_eq_u64_e64 s1, 0, v[9:10]
	v_lshrrev_b32_e32 v9, 23, v19
	s_delay_alu instid0(VALU_DEP_1) | instskip(NEXT) | instid1(VALU_DEP_3)
	v_add3_u32 v17, v5, v21, v9
	s_and_b32 vcc_lo, s1, s0
	s_mov_b32 s0, exec_lo
	v_subrev_co_ci_u32_e32 v11, vcc_lo, 0, v19, vcc_lo
	s_delay_alu instid0(VALU_DEP_2) | instskip(NEXT) | instid1(VALU_DEP_2)
	v_add_nc_u32_e32 v18, -1, v17
	v_and_b32_e32 v5, 0xfffff, v11
	s_delay_alu instid0(VALU_DEP_1) | instskip(SKIP_1) | instid1(VALU_DEP_4)
	v_add_co_u32 v11, vcc_lo, v5, v19
	v_add_co_ci_u32_e32 v12, vcc_lo, 0, v20, vcc_lo
                                        ; implicit-def: $vgpr5
	v_cmpx_ne_u32_e32 0, v18
	s_xor_b32 s0, exec_lo, s0
; %bb.65:                               ;   in Loop: Header=BB21_29 Depth=1
	s_delay_alu instid0(VALU_DEP_3) | instskip(SKIP_1) | instid1(VALU_DEP_2)
	v_and_b32_e32 v9, 0x1000000, v11
	v_bfe_u32 v5, v11, 24, 1
	v_cmp_eq_u64_e32 vcc_lo, 0, v[9:10]
	s_delay_alu instid0(VALU_DEP_2)
	v_lshrrev_b64 v[11:12], v5, v[11:12]
	v_cndmask_b32_e32 v5, v17, v18, vcc_lo
; %bb.66:                               ;   in Loop: Header=BB21_29 Depth=1
	s_and_not1_saveexec_b32 s0, s0
; %bb.67:                               ;   in Loop: Header=BB21_29 Depth=1
	s_delay_alu instid0(VALU_DEP_2)
	v_bfe_u32 v5, v11, 23, 1
; %bb.68:                               ;   in Loop: Header=BB21_29 Depth=1
	s_or_b32 exec_lo, exec_lo, s0
	s_delay_alu instid0(VALU_DEP_3) | instskip(NEXT) | instid1(VALU_DEP_2)
	v_lshrrev_b64 v[11:12], 20, v[11:12]
	v_cmp_gt_i32_e32 vcc_lo, 16, v5
	v_cmp_ne_u32_e64 s0, 0, v5
	s_delay_alu instid0(VALU_DEP_3) | instskip(NEXT) | instid1(VALU_DEP_1)
	v_dual_cndmask_b32 v12, 0, v12 :: v_dual_cndmask_b32 v11, 7, v11
	v_cmp_ne_u64_e32 vcc_lo, 0, v[11:12]
                                        ; implicit-def: $vgpr12
	s_delay_alu instid0(VALU_DEP_3) | instskip(NEXT) | instid1(SALU_CYCLE_1)
	s_or_b32 s0, s0, vcc_lo
	s_and_saveexec_b32 s1, s0
	s_delay_alu instid0(SALU_CYCLE_1)
	s_xor_b32 s0, exec_lo, s1
; %bb.69:                               ;   in Loop: Header=BB21_29 Depth=1
	v_min_i32_e32 v5, 15, v5
	s_delay_alu instid0(VALU_DEP_1) | instskip(NEXT) | instid1(VALU_DEP_1)
	v_lshl_or_b32 v1, v5, 3, v1
	v_and_or_b32 v12, v11, 7, v1
                                        ; implicit-def: $vgpr1
; %bb.70:                               ;   in Loop: Header=BB21_29 Depth=1
	s_and_not1_saveexec_b32 s0, s0
; %bb.71:                               ;   in Loop: Header=BB21_29 Depth=1
	v_mov_b32_e32 v12, v1
; %bb.72:                               ;   in Loop: Header=BB21_29 Depth=1
	s_or_b32 exec_lo, exec_lo, s0
.LBB21_73:                              ;   in Loop: Header=BB21_29 Depth=1
	s_delay_alu instid0(SALU_CYCLE_1)
	s_or_b32 exec_lo, exec_lo, s16
.LBB21_74:                              ;   in Loop: Header=BB21_29 Depth=1
	s_and_not1_saveexec_b32 s0, s15
	s_delay_alu instid0(SALU_CYCLE_1)
	s_or_b32 exec_lo, exec_lo, s0
                                        ; implicit-def: $vgpr17
.LBB21_75:                              ;   in Loop: Header=BB21_29 Depth=1
	s_and_not1_saveexec_b32 s0, s14
; %bb.76:                               ;   in Loop: Header=BB21_29 Depth=1
	v_cmp_eq_u64_e32 vcc_lo, 0, v[9:10]
	v_or_b32_e32 v1, 0x7f, v17
	s_delay_alu instid0(VALU_DEP_1)
	v_cndmask_b32_e32 v12, v1, v12, vcc_lo
; %bb.77:                               ;   in Loop: Header=BB21_29 Depth=1
	s_or_b32 exec_lo, exec_lo, s0
	v_dual_mov_b32 v18, v10 :: v_dual_and_b32 v1, 0xffff0000, v6
	v_add_nc_u32_e32 v11, 2, v14
	s_mov_b32 s0, exec_lo
	s_delay_alu instid0(VALU_DEP_2) | instskip(SKIP_3) | instid1(VALU_DEP_2)
	v_dual_mul_f32 v1, v13, v1 :: v_dual_and_b32 v2, 0xffff0000, v2
	global_store_b8 v11, v12, s[2:3]
	v_bfe_u32 v5, v1, 16, 1
	v_cmp_o_f32_e32 vcc_lo, v1, v1
	v_add3_u32 v5, v1, v5, 0x7fff
	s_delay_alu instid0(VALU_DEP_1) | instskip(NEXT) | instid1(VALU_DEP_1)
	v_and_b32_e32 v5, 0xffff0000, v5
	v_cndmask_b32_e32 v1, 0x7fc00000, v5, vcc_lo
	s_delay_alu instid0(VALU_DEP_1) | instskip(NEXT) | instid1(VALU_DEP_1)
	v_mul_f32_e32 v1, v1, v2
	v_bfe_u32 v2, v1, 16, 1
	v_cmp_o_f32_e32 vcc_lo, v1, v1
	s_delay_alu instid0(VALU_DEP_2) | instskip(NEXT) | instid1(VALU_DEP_1)
	v_add3_u32 v2, v1, v2, 0x7fff
	v_and_b32_e32 v2, 0xffff0000, v2
	s_delay_alu instid0(VALU_DEP_1) | instskip(NEXT) | instid1(VALU_DEP_1)
	v_cndmask_b32_e32 v1, 0x7fc00000, v2, vcc_lo
	v_mul_f32_e32 v1, v15, v1
	s_delay_alu instid0(VALU_DEP_1) | instskip(NEXT) | instid1(VALU_DEP_1)
	v_minmax_f32 v1, v1, s13, 0xc3e00000
	v_lshrrev_b32_e32 v6, 24, v1
	v_and_b32_e32 v17, 0x7f800000, v1
	v_and_b32_e32 v9, 0x7fffff, v1
	s_delay_alu instid0(VALU_DEP_3) | instskip(NEXT) | instid1(VALU_DEP_1)
	v_and_b32_e32 v5, 0x80, v6
	v_or_b32_e32 v2, 0x7e, v5
	s_delay_alu instid0(VALU_DEP_4)
	v_cmpx_ne_u64_e32 0x7f800000, v[17:18]
	s_xor_b32 s14, exec_lo, s0
	s_cbranch_execz .LBB21_91
; %bb.78:                               ;   in Loop: Header=BB21_29 Depth=1
	v_dual_mov_b32 v12, v10 :: v_dual_and_b32 v11, 0x7fffffff, v1
	s_mov_b32 s0, exec_lo
	s_delay_alu instid0(VALU_DEP_1)
	v_cmpx_gt_u64_e32 0x43e00001, v[11:12]
	s_xor_b32 s15, exec_lo, s0
	s_cbranch_execz .LBB21_90
; %bb.79:                               ;   in Loop: Header=BB21_29 Depth=1
	v_mov_b32_e32 v2, 0
	s_mov_b32 s16, exec_lo
	v_cmpx_ne_u32_e32 0, v1
	s_cbranch_execz .LBB21_89
; %bb.80:                               ;   in Loop: Header=BB21_29 Depth=1
	v_bfe_u32 v6, v1, 23, 8
	s_delay_alu instid0(VALU_DEP_1) | instskip(SKIP_2) | instid1(VALU_DEP_3)
	v_sub_nc_u32_e64 v1, 0x79, v6 clamp
	v_cmp_eq_u32_e32 vcc_lo, 0, v6
	v_add_nc_u32_e32 v6, 0xffffff88, v6
	v_cndmask_b32_e64 v19, v1, 0x78, vcc_lo
	v_or_b32_e32 v1, 0x800000, v9
	s_delay_alu instid0(VALU_DEP_1) | instskip(SKIP_1) | instid1(VALU_DEP_2)
	v_dual_cndmask_b32 v9, v1, v9 :: v_dual_add_nc_u32 v2, 20, v19
	v_add_nc_u32_e32 v11, 19, v19
	v_lshlrev_b64 v[1:2], v2, -1
	s_delay_alu instid0(VALU_DEP_3) | instskip(NEXT) | instid1(VALU_DEP_2)
	v_lshrrev_b64 v[17:18], v19, v[9:10]
	v_not_b32_e32 v12, v2
	s_delay_alu instid0(VALU_DEP_3) | instskip(SKIP_1) | instid1(VALU_DEP_3)
	v_not_b32_e32 v20, v1
	v_lshlrev_b64 v[1:2], v11, 1
	v_and_b32_e32 v12, 0, v12
	s_delay_alu instid0(VALU_DEP_3) | instskip(SKIP_1) | instid1(VALU_DEP_2)
	v_and_b32_e32 v11, v9, v20
	v_and_b32_e32 v9, 0x100000, v17
	v_cmp_eq_u64_e64 s0, v[11:12], v[1:2]
	s_delay_alu instid0(VALU_DEP_2) | instskip(SKIP_2) | instid1(VALU_DEP_3)
	v_cmp_eq_u64_e64 s1, 0, v[9:10]
	v_cndmask_b32_e64 v1, v6, 0xffffff89, vcc_lo
	v_lshrrev_b32_e32 v2, 23, v17
	s_and_b32 vcc_lo, s1, s0
	s_delay_alu instid0(VALU_DEP_1) | instskip(SKIP_2) | instid1(VALU_DEP_2)
	v_add3_u32 v11, v1, v19, v2
	v_subrev_co_ci_u32_e32 v6, vcc_lo, 0, v17, vcc_lo
	s_mov_b32 s0, exec_lo
	v_add_nc_u32_e32 v12, -1, v11
	s_delay_alu instid0(VALU_DEP_2) | instskip(NEXT) | instid1(VALU_DEP_1)
	v_and_b32_e32 v1, 0xfffff, v6
                                        ; implicit-def: $vgpr6
	v_add_co_u32 v1, vcc_lo, v1, v17
	v_add_co_ci_u32_e32 v2, vcc_lo, 0, v18, vcc_lo
	s_delay_alu instid0(VALU_DEP_4)
	v_cmpx_ne_u32_e32 0, v12
	s_xor_b32 s0, exec_lo, s0
; %bb.81:                               ;   in Loop: Header=BB21_29 Depth=1
	s_delay_alu instid0(VALU_DEP_3) | instskip(SKIP_1) | instid1(VALU_DEP_2)
	v_and_b32_e32 v9, 0x1000000, v1
	v_bfe_u32 v6, v1, 24, 1
	v_cmp_eq_u64_e32 vcc_lo, 0, v[9:10]
	s_delay_alu instid0(VALU_DEP_2)
	v_lshrrev_b64 v[1:2], v6, v[1:2]
	v_cndmask_b32_e32 v6, v11, v12, vcc_lo
; %bb.82:                               ;   in Loop: Header=BB21_29 Depth=1
	s_and_not1_saveexec_b32 s0, s0
; %bb.83:                               ;   in Loop: Header=BB21_29 Depth=1
	s_delay_alu instid0(VALU_DEP_2)
	v_bfe_u32 v6, v1, 23, 1
; %bb.84:                               ;   in Loop: Header=BB21_29 Depth=1
	s_or_b32 exec_lo, exec_lo, s0
	s_delay_alu instid0(VALU_DEP_3) | instskip(NEXT) | instid1(VALU_DEP_2)
	v_lshrrev_b64 v[1:2], 20, v[1:2]
	v_cmp_gt_i32_e32 vcc_lo, 16, v6
	v_cmp_ne_u32_e64 s0, 0, v6
	s_delay_alu instid0(VALU_DEP_3) | instskip(NEXT) | instid1(VALU_DEP_1)
	v_dual_cndmask_b32 v2, 0, v2 :: v_dual_cndmask_b32 v1, 7, v1
	v_cmp_ne_u64_e32 vcc_lo, 0, v[1:2]
                                        ; implicit-def: $vgpr2
	s_delay_alu instid0(VALU_DEP_3) | instskip(NEXT) | instid1(SALU_CYCLE_1)
	s_or_b32 s0, s0, vcc_lo
	s_and_saveexec_b32 s1, s0
	s_delay_alu instid0(SALU_CYCLE_1)
	s_xor_b32 s0, exec_lo, s1
; %bb.85:                               ;   in Loop: Header=BB21_29 Depth=1
	v_min_i32_e32 v2, 15, v6
	s_delay_alu instid0(VALU_DEP_1) | instskip(NEXT) | instid1(VALU_DEP_1)
	v_lshl_or_b32 v2, v2, 3, v5
                                        ; implicit-def: $vgpr5
	v_and_or_b32 v2, v1, 7, v2
; %bb.86:                               ;   in Loop: Header=BB21_29 Depth=1
	s_and_not1_saveexec_b32 s0, s0
; %bb.87:                               ;   in Loop: Header=BB21_29 Depth=1
	v_mov_b32_e32 v2, v5
; %bb.88:                               ;   in Loop: Header=BB21_29 Depth=1
	s_or_b32 exec_lo, exec_lo, s0
.LBB21_89:                              ;   in Loop: Header=BB21_29 Depth=1
	s_delay_alu instid0(SALU_CYCLE_1)
	s_or_b32 exec_lo, exec_lo, s16
.LBB21_90:                              ;   in Loop: Header=BB21_29 Depth=1
	s_and_not1_saveexec_b32 s0, s15
	s_delay_alu instid0(SALU_CYCLE_1)
	s_or_b32 exec_lo, exec_lo, s0
                                        ; implicit-def: $vgpr6
.LBB21_91:                              ;   in Loop: Header=BB21_29 Depth=1
	s_and_not1_saveexec_b32 s0, s14
; %bb.92:                               ;   in Loop: Header=BB21_29 Depth=1
	v_cmp_eq_u64_e32 vcc_lo, 0, v[9:10]
	v_or_b32_e32 v1, 0x7f, v6
	s_delay_alu instid0(VALU_DEP_1)
	v_cndmask_b32_e32 v2, v1, v2, vcc_lo
; %bb.93:                               ;   in Loop: Header=BB21_29 Depth=1
	s_or_b32 exec_lo, exec_lo, s0
	v_dual_mov_b32 v18, v10 :: v_dual_lshlrev_b32 v1, 16, v7
	s_mov_b32 s0, exec_lo
	s_delay_alu instid0(VALU_DEP_1) | instskip(SKIP_3) | instid1(VALU_DEP_2)
	v_dual_mul_f32 v1, v13, v1 :: v_dual_add_nc_u32 v12, 3, v14
	global_store_b8 v12, v2, s[2:3]
	v_bfe_u32 v5, v1, 16, 1
	v_cmp_o_f32_e32 vcc_lo, v1, v1
	v_add3_u32 v5, v1, v5, 0x7fff
	s_delay_alu instid0(VALU_DEP_1) | instskip(NEXT) | instid1(VALU_DEP_1)
	v_and_b32_e32 v5, 0xffff0000, v5
	v_cndmask_b32_e32 v1, 0x7fc00000, v5, vcc_lo
	v_lshlrev_b32_e32 v5, 16, v3
	s_delay_alu instid0(VALU_DEP_1) | instskip(NEXT) | instid1(VALU_DEP_1)
	v_mul_f32_e32 v1, v1, v5
	v_bfe_u32 v5, v1, 16, 1
	v_cmp_o_f32_e32 vcc_lo, v1, v1
	s_delay_alu instid0(VALU_DEP_2) | instskip(NEXT) | instid1(VALU_DEP_1)
	v_add3_u32 v5, v1, v5, 0x7fff
	v_and_b32_e32 v5, 0xffff0000, v5
	s_delay_alu instid0(VALU_DEP_1) | instskip(NEXT) | instid1(VALU_DEP_1)
	v_cndmask_b32_e32 v1, 0x7fc00000, v5, vcc_lo
	v_mul_f32_e32 v1, v15, v1
	s_delay_alu instid0(VALU_DEP_1) | instskip(NEXT) | instid1(VALU_DEP_1)
	v_minmax_f32 v1, v1, s13, 0xc3e00000
	v_lshrrev_b32_e32 v11, 24, v1
	v_and_b32_e32 v17, 0x7f800000, v1
	v_and_b32_e32 v9, 0x7fffff, v1
	s_delay_alu instid0(VALU_DEP_3) | instskip(NEXT) | instid1(VALU_DEP_1)
	v_and_b32_e32 v5, 0x80, v11
	v_or_b32_e32 v6, 0x7e, v5
	s_delay_alu instid0(VALU_DEP_4)
	v_cmpx_ne_u64_e32 0x7f800000, v[17:18]
	s_xor_b32 s14, exec_lo, s0
	s_cbranch_execz .LBB21_107
; %bb.94:                               ;   in Loop: Header=BB21_29 Depth=1
	v_dual_mov_b32 v12, v10 :: v_dual_and_b32 v11, 0x7fffffff, v1
	s_mov_b32 s0, exec_lo
	s_delay_alu instid0(VALU_DEP_1)
	v_cmpx_gt_u64_e32 0x43e00001, v[11:12]
	s_xor_b32 s15, exec_lo, s0
	s_cbranch_execz .LBB21_106
; %bb.95:                               ;   in Loop: Header=BB21_29 Depth=1
	v_mov_b32_e32 v6, 0
	s_mov_b32 s16, exec_lo
	v_cmpx_ne_u32_e32 0, v1
	s_cbranch_execz .LBB21_105
; %bb.96:                               ;   in Loop: Header=BB21_29 Depth=1
	v_bfe_u32 v6, v1, 23, 8
	s_delay_alu instid0(VALU_DEP_1) | instskip(SKIP_2) | instid1(VALU_DEP_3)
	v_sub_nc_u32_e64 v1, 0x79, v6 clamp
	v_cmp_eq_u32_e32 vcc_lo, 0, v6
	v_add_nc_u32_e32 v6, 0xffffff88, v6
	v_cndmask_b32_e64 v19, v1, 0x78, vcc_lo
	v_or_b32_e32 v1, 0x800000, v9
	s_delay_alu instid0(VALU_DEP_1) | instskip(SKIP_1) | instid1(VALU_DEP_2)
	v_dual_cndmask_b32 v9, v1, v9 :: v_dual_add_nc_u32 v2, 20, v19
	v_add_nc_u32_e32 v11, 19, v19
	v_lshlrev_b64 v[1:2], v2, -1
	s_delay_alu instid0(VALU_DEP_3) | instskip(NEXT) | instid1(VALU_DEP_2)
	v_lshrrev_b64 v[17:18], v19, v[9:10]
	v_not_b32_e32 v12, v2
	s_delay_alu instid0(VALU_DEP_3) | instskip(SKIP_1) | instid1(VALU_DEP_3)
	v_not_b32_e32 v20, v1
	v_lshlrev_b64 v[1:2], v11, 1
	v_and_b32_e32 v12, 0, v12
	s_delay_alu instid0(VALU_DEP_3) | instskip(SKIP_1) | instid1(VALU_DEP_2)
	v_and_b32_e32 v11, v9, v20
	v_and_b32_e32 v9, 0x100000, v17
	v_cmp_eq_u64_e64 s0, v[11:12], v[1:2]
	s_delay_alu instid0(VALU_DEP_2) | instskip(SKIP_2) | instid1(VALU_DEP_3)
	v_cmp_eq_u64_e64 s1, 0, v[9:10]
	v_cndmask_b32_e64 v1, v6, 0xffffff89, vcc_lo
	v_lshrrev_b32_e32 v2, 23, v17
	s_and_b32 vcc_lo, s1, s0
	s_delay_alu instid0(VALU_DEP_1) | instskip(SKIP_2) | instid1(VALU_DEP_2)
	v_add3_u32 v6, v1, v19, v2
	v_subrev_co_ci_u32_e32 v9, vcc_lo, 0, v17, vcc_lo
	s_mov_b32 s0, exec_lo
	v_add_nc_u32_e32 v11, -1, v6
	s_delay_alu instid0(VALU_DEP_2) | instskip(NEXT) | instid1(VALU_DEP_1)
	v_and_b32_e32 v1, 0xfffff, v9
                                        ; implicit-def: $vgpr9
	v_add_co_u32 v1, vcc_lo, v1, v17
	v_add_co_ci_u32_e32 v2, vcc_lo, 0, v18, vcc_lo
	s_delay_alu instid0(VALU_DEP_4)
	v_cmpx_ne_u32_e32 0, v11
	s_xor_b32 s0, exec_lo, s0
; %bb.97:                               ;   in Loop: Header=BB21_29 Depth=1
	s_delay_alu instid0(VALU_DEP_3) | instskip(SKIP_1) | instid1(VALU_DEP_2)
	v_and_b32_e32 v9, 0x1000000, v1
	v_bfe_u32 v12, v1, 24, 1
	v_cmp_eq_u64_e32 vcc_lo, 0, v[9:10]
	s_delay_alu instid0(VALU_DEP_2)
	v_lshrrev_b64 v[1:2], v12, v[1:2]
	v_cndmask_b32_e32 v9, v6, v11, vcc_lo
; %bb.98:                               ;   in Loop: Header=BB21_29 Depth=1
	s_and_not1_saveexec_b32 s0, s0
; %bb.99:                               ;   in Loop: Header=BB21_29 Depth=1
	s_delay_alu instid0(VALU_DEP_2)
	v_bfe_u32 v9, v1, 23, 1
; %bb.100:                              ;   in Loop: Header=BB21_29 Depth=1
	s_or_b32 exec_lo, exec_lo, s0
	s_delay_alu instid0(VALU_DEP_3) | instskip(NEXT) | instid1(VALU_DEP_2)
	v_lshrrev_b64 v[1:2], 20, v[1:2]
	v_cmp_gt_i32_e32 vcc_lo, 16, v9
	v_cmp_ne_u32_e64 s0, 0, v9
                                        ; implicit-def: $vgpr6
	s_delay_alu instid0(VALU_DEP_3) | instskip(NEXT) | instid1(VALU_DEP_1)
	v_dual_cndmask_b32 v2, 0, v2 :: v_dual_cndmask_b32 v1, 7, v1
	v_cmp_ne_u64_e32 vcc_lo, 0, v[1:2]
	s_delay_alu instid0(VALU_DEP_3) | instskip(NEXT) | instid1(SALU_CYCLE_1)
	s_or_b32 s0, s0, vcc_lo
	s_and_saveexec_b32 s1, s0
	s_delay_alu instid0(SALU_CYCLE_1)
	s_xor_b32 s0, exec_lo, s1
; %bb.101:                              ;   in Loop: Header=BB21_29 Depth=1
	v_min_i32_e32 v2, 15, v9
	s_delay_alu instid0(VALU_DEP_1) | instskip(NEXT) | instid1(VALU_DEP_1)
	v_lshl_or_b32 v2, v2, 3, v5
                                        ; implicit-def: $vgpr5
	v_and_or_b32 v6, v1, 7, v2
; %bb.102:                              ;   in Loop: Header=BB21_29 Depth=1
	s_and_not1_saveexec_b32 s0, s0
; %bb.103:                              ;   in Loop: Header=BB21_29 Depth=1
	v_mov_b32_e32 v6, v5
; %bb.104:                              ;   in Loop: Header=BB21_29 Depth=1
	s_or_b32 exec_lo, exec_lo, s0
.LBB21_105:                             ;   in Loop: Header=BB21_29 Depth=1
	s_delay_alu instid0(SALU_CYCLE_1)
	s_or_b32 exec_lo, exec_lo, s16
.LBB21_106:                             ;   in Loop: Header=BB21_29 Depth=1
	s_and_not1_saveexec_b32 s0, s15
	s_delay_alu instid0(SALU_CYCLE_1)
	s_or_b32 exec_lo, exec_lo, s0
                                        ; implicit-def: $vgpr11
.LBB21_107:                             ;   in Loop: Header=BB21_29 Depth=1
	s_and_not1_saveexec_b32 s0, s14
; %bb.108:                              ;   in Loop: Header=BB21_29 Depth=1
	v_cmp_eq_u64_e32 vcc_lo, 0, v[9:10]
	v_or_b32_e32 v1, 0x7f, v11
	s_delay_alu instid0(VALU_DEP_1)
	v_cndmask_b32_e32 v6, v1, v6, vcc_lo
; %bb.109:                              ;   in Loop: Header=BB21_29 Depth=1
	s_or_b32 exec_lo, exec_lo, s0
	v_dual_mov_b32 v12, v10 :: v_dual_and_b32 v1, 0xffff0000, v7
	v_add_nc_u32_e32 v7, 4, v14
	s_mov_b32 s0, exec_lo
	s_delay_alu instid0(VALU_DEP_2) | instskip(SKIP_2) | instid1(VALU_DEP_1)
	v_mul_f32_e32 v1, v13, v1
	global_store_b8 v7, v6, s[2:3]
	v_bfe_u32 v2, v1, 16, 1
	v_add3_u32 v2, v1, v2, 0x7fff
	s_delay_alu instid0(VALU_DEP_1) | instskip(SKIP_1) | instid1(VALU_DEP_2)
	v_and_b32_e32 v2, 0xffff0000, v2
	v_cmp_o_f32_e32 vcc_lo, v1, v1
	v_cndmask_b32_e32 v1, 0x7fc00000, v2, vcc_lo
	v_and_b32_e32 v2, 0xffff0000, v3
	s_delay_alu instid0(VALU_DEP_1) | instskip(NEXT) | instid1(VALU_DEP_1)
	v_mul_f32_e32 v1, v1, v2
	v_bfe_u32 v2, v1, 16, 1
	v_cmp_o_f32_e32 vcc_lo, v1, v1
	s_delay_alu instid0(VALU_DEP_2) | instskip(NEXT) | instid1(VALU_DEP_1)
	v_add3_u32 v2, v1, v2, 0x7fff
	v_and_b32_e32 v2, 0xffff0000, v2
	s_delay_alu instid0(VALU_DEP_1) | instskip(NEXT) | instid1(VALU_DEP_1)
	v_cndmask_b32_e32 v1, 0x7fc00000, v2, vcc_lo
	v_mul_f32_e32 v1, v15, v1
	s_delay_alu instid0(VALU_DEP_1) | instskip(NEXT) | instid1(VALU_DEP_1)
	v_minmax_f32 v1, v1, s13, 0xc3e00000
	v_lshrrev_b32_e32 v5, 24, v1
	v_and_b32_e32 v11, 0x7f800000, v1
	v_and_b32_e32 v9, 0x7fffff, v1
	s_delay_alu instid0(VALU_DEP_3) | instskip(NEXT) | instid1(VALU_DEP_1)
	v_and_b32_e32 v3, 0x80, v5
	v_or_b32_e32 v2, 0x7e, v3
	s_delay_alu instid0(VALU_DEP_4)
	v_cmpx_ne_u64_e32 0x7f800000, v[11:12]
	s_xor_b32 s14, exec_lo, s0
	s_cbranch_execz .LBB21_123
; %bb.110:                              ;   in Loop: Header=BB21_29 Depth=1
	v_dual_mov_b32 v6, v10 :: v_dual_and_b32 v5, 0x7fffffff, v1
	s_mov_b32 s0, exec_lo
	s_delay_alu instid0(VALU_DEP_1)
	v_cmpx_gt_u64_e32 0x43e00001, v[5:6]
	s_xor_b32 s15, exec_lo, s0
	s_cbranch_execz .LBB21_122
; %bb.111:                              ;   in Loop: Header=BB21_29 Depth=1
	v_mov_b32_e32 v2, 0
	s_mov_b32 s16, exec_lo
	v_cmpx_ne_u32_e32 0, v1
	s_cbranch_execz .LBB21_121
; %bb.112:                              ;   in Loop: Header=BB21_29 Depth=1
	v_bfe_u32 v7, v1, 23, 8
	s_delay_alu instid0(VALU_DEP_1) | instskip(SKIP_2) | instid1(VALU_DEP_3)
	v_sub_nc_u32_e64 v1, 0x79, v7 clamp
	v_cmp_eq_u32_e32 vcc_lo, 0, v7
	v_add_nc_u32_e32 v7, 0xffffff88, v7
	v_cndmask_b32_e64 v17, v1, 0x78, vcc_lo
	v_or_b32_e32 v1, 0x800000, v9
	s_delay_alu instid0(VALU_DEP_2) | instskip(NEXT) | instid1(VALU_DEP_2)
	v_add_nc_u32_e32 v2, 20, v17
	v_cndmask_b32_e32 v9, v1, v9, vcc_lo
	v_add_nc_u32_e32 v5, 19, v17
	s_delay_alu instid0(VALU_DEP_3) | instskip(NEXT) | instid1(VALU_DEP_1)
	v_lshlrev_b64 v[1:2], v2, -1
	v_not_b32_e32 v6, v2
	s_delay_alu instid0(VALU_DEP_2) | instskip(NEXT) | instid1(VALU_DEP_4)
	v_not_b32_e32 v18, v1
	v_lshlrev_b64 v[1:2], v5, 1
	s_delay_alu instid0(VALU_DEP_3) | instskip(SKIP_1) | instid1(VALU_DEP_4)
	v_and_b32_e32 v6, 0, v6
	v_lshrrev_b64 v[11:12], v17, v[9:10]
	v_and_b32_e32 v5, v9, v18
	s_delay_alu instid0(VALU_DEP_1) | instskip(NEXT) | instid1(VALU_DEP_3)
	v_cmp_eq_u64_e64 s0, v[5:6], v[1:2]
	v_and_b32_e32 v9, 0x100000, v11
	v_cndmask_b32_e64 v1, v7, 0xffffff89, vcc_lo
	v_lshrrev_b32_e32 v2, 23, v11
	s_delay_alu instid0(VALU_DEP_3) | instskip(NEXT) | instid1(VALU_DEP_2)
	v_cmp_eq_u64_e64 s1, 0, v[9:10]
	v_add3_u32 v6, v1, v17, v2
	s_delay_alu instid0(VALU_DEP_2) | instskip(NEXT) | instid1(VALU_DEP_1)
	s_and_b32 vcc_lo, s1, s0
	v_add_nc_u32_e32 v7, -1, v6
	v_subrev_co_ci_u32_e32 v5, vcc_lo, 0, v11, vcc_lo
	s_mov_b32 s0, exec_lo
	s_delay_alu instid0(VALU_DEP_1) | instskip(NEXT) | instid1(VALU_DEP_1)
	v_and_b32_e32 v1, 0xfffff, v5
                                        ; implicit-def: $vgpr5
	v_add_co_u32 v1, vcc_lo, v1, v11
	v_add_co_ci_u32_e32 v2, vcc_lo, 0, v12, vcc_lo
	v_cmpx_ne_u32_e32 0, v7
	s_xor_b32 s0, exec_lo, s0
; %bb.113:                              ;   in Loop: Header=BB21_29 Depth=1
	s_delay_alu instid0(VALU_DEP_3) | instskip(SKIP_1) | instid1(VALU_DEP_2)
	v_and_b32_e32 v9, 0x1000000, v1
	v_bfe_u32 v5, v1, 24, 1
	v_cmp_eq_u64_e32 vcc_lo, 0, v[9:10]
	s_delay_alu instid0(VALU_DEP_2)
	v_lshrrev_b64 v[1:2], v5, v[1:2]
	v_cndmask_b32_e32 v5, v6, v7, vcc_lo
; %bb.114:                              ;   in Loop: Header=BB21_29 Depth=1
	s_and_not1_saveexec_b32 s0, s0
; %bb.115:                              ;   in Loop: Header=BB21_29 Depth=1
	s_delay_alu instid0(VALU_DEP_2)
	v_bfe_u32 v5, v1, 23, 1
; %bb.116:                              ;   in Loop: Header=BB21_29 Depth=1
	s_or_b32 exec_lo, exec_lo, s0
	s_delay_alu instid0(VALU_DEP_3) | instskip(NEXT) | instid1(VALU_DEP_2)
	v_lshrrev_b64 v[1:2], 20, v[1:2]
	v_cmp_gt_i32_e32 vcc_lo, 16, v5
	v_cmp_ne_u32_e64 s0, 0, v5
	s_delay_alu instid0(VALU_DEP_3) | instskip(NEXT) | instid1(VALU_DEP_1)
	v_dual_cndmask_b32 v2, 0, v2 :: v_dual_cndmask_b32 v1, 7, v1
	v_cmp_ne_u64_e32 vcc_lo, 0, v[1:2]
                                        ; implicit-def: $vgpr2
	s_delay_alu instid0(VALU_DEP_3) | instskip(NEXT) | instid1(SALU_CYCLE_1)
	s_or_b32 s0, s0, vcc_lo
	s_and_saveexec_b32 s1, s0
	s_delay_alu instid0(SALU_CYCLE_1)
	s_xor_b32 s0, exec_lo, s1
; %bb.117:                              ;   in Loop: Header=BB21_29 Depth=1
	v_min_i32_e32 v2, 15, v5
	s_delay_alu instid0(VALU_DEP_1) | instskip(NEXT) | instid1(VALU_DEP_1)
	v_lshl_or_b32 v2, v2, 3, v3
                                        ; implicit-def: $vgpr3
	v_and_or_b32 v2, v1, 7, v2
; %bb.118:                              ;   in Loop: Header=BB21_29 Depth=1
	s_and_not1_saveexec_b32 s0, s0
; %bb.119:                              ;   in Loop: Header=BB21_29 Depth=1
	v_mov_b32_e32 v2, v3
; %bb.120:                              ;   in Loop: Header=BB21_29 Depth=1
	s_or_b32 exec_lo, exec_lo, s0
.LBB21_121:                             ;   in Loop: Header=BB21_29 Depth=1
	s_delay_alu instid0(SALU_CYCLE_1)
	s_or_b32 exec_lo, exec_lo, s16
.LBB21_122:                             ;   in Loop: Header=BB21_29 Depth=1
	s_and_not1_saveexec_b32 s0, s15
	s_delay_alu instid0(SALU_CYCLE_1)
	s_or_b32 exec_lo, exec_lo, s0
                                        ; implicit-def: $vgpr5
.LBB21_123:                             ;   in Loop: Header=BB21_29 Depth=1
	s_and_not1_saveexec_b32 s0, s14
; %bb.124:                              ;   in Loop: Header=BB21_29 Depth=1
	v_cmp_eq_u64_e32 vcc_lo, 0, v[9:10]
	v_or_b32_e32 v1, 0x7f, v5
	s_delay_alu instid0(VALU_DEP_1)
	v_cndmask_b32_e32 v2, v1, v2, vcc_lo
; %bb.125:                              ;   in Loop: Header=BB21_29 Depth=1
	s_or_b32 exec_lo, exec_lo, s0
	v_dual_mov_b32 v12, v10 :: v_dual_lshlrev_b32 v1, 16, v8
	v_add_nc_u32_e32 v7, 5, v14
	s_mov_b32 s0, exec_lo
	s_delay_alu instid0(VALU_DEP_2) | instskip(SKIP_3) | instid1(VALU_DEP_2)
	v_mul_f32_e32 v1, v13, v1
	global_store_b8 v7, v2, s[2:3]
	v_bfe_u32 v3, v1, 16, 1
	v_cmp_o_f32_e32 vcc_lo, v1, v1
	v_add3_u32 v3, v1, v3, 0x7fff
	s_delay_alu instid0(VALU_DEP_1) | instskip(NEXT) | instid1(VALU_DEP_1)
	v_and_b32_e32 v3, 0xffff0000, v3
	v_cndmask_b32_e32 v1, 0x7fc00000, v3, vcc_lo
	v_lshlrev_b32_e32 v3, 16, v4
	s_delay_alu instid0(VALU_DEP_1) | instskip(NEXT) | instid1(VALU_DEP_1)
	v_mul_f32_e32 v1, v1, v3
	v_bfe_u32 v3, v1, 16, 1
	v_cmp_o_f32_e32 vcc_lo, v1, v1
	s_delay_alu instid0(VALU_DEP_2) | instskip(NEXT) | instid1(VALU_DEP_1)
	v_add3_u32 v3, v1, v3, 0x7fff
	v_and_b32_e32 v3, 0xffff0000, v3
	s_delay_alu instid0(VALU_DEP_1) | instskip(NEXT) | instid1(VALU_DEP_1)
	v_cndmask_b32_e32 v1, 0x7fc00000, v3, vcc_lo
	v_mul_f32_e32 v1, v15, v1
	s_delay_alu instid0(VALU_DEP_1) | instskip(NEXT) | instid1(VALU_DEP_1)
	v_minmax_f32 v1, v1, s13, 0xc3e00000
	v_lshrrev_b32_e32 v6, 24, v1
	v_and_b32_e32 v11, 0x7f800000, v1
	v_and_b32_e32 v9, 0x7fffff, v1
	s_delay_alu instid0(VALU_DEP_3) | instskip(NEXT) | instid1(VALU_DEP_1)
	v_and_b32_e32 v3, 0x80, v6
	v_or_b32_e32 v5, 0x7e, v3
	s_delay_alu instid0(VALU_DEP_4)
	v_cmpx_ne_u64_e32 0x7f800000, v[11:12]
	s_xor_b32 s14, exec_lo, s0
	s_cbranch_execz .LBB21_139
; %bb.126:                              ;   in Loop: Header=BB21_29 Depth=1
	v_dual_mov_b32 v7, v10 :: v_dual_and_b32 v6, 0x7fffffff, v1
	s_mov_b32 s0, exec_lo
	s_delay_alu instid0(VALU_DEP_1)
	v_cmpx_gt_u64_e32 0x43e00001, v[6:7]
	s_xor_b32 s15, exec_lo, s0
	s_cbranch_execz .LBB21_138
; %bb.127:                              ;   in Loop: Header=BB21_29 Depth=1
	v_mov_b32_e32 v5, 0
	s_mov_b32 s16, exec_lo
	v_cmpx_ne_u32_e32 0, v1
	s_cbranch_execz .LBB21_137
; %bb.128:                              ;   in Loop: Header=BB21_29 Depth=1
	v_bfe_u32 v7, v1, 23, 8
	s_delay_alu instid0(VALU_DEP_1) | instskip(SKIP_2) | instid1(VALU_DEP_3)
	v_sub_nc_u32_e64 v1, 0x79, v7 clamp
	v_cmp_eq_u32_e32 vcc_lo, 0, v7
	v_add_nc_u32_e32 v7, 0xffffff88, v7
	v_cndmask_b32_e64 v17, v1, 0x78, vcc_lo
	v_or_b32_e32 v1, 0x800000, v9
	s_delay_alu instid0(VALU_DEP_2) | instskip(NEXT) | instid1(VALU_DEP_2)
	v_add_nc_u32_e32 v2, 20, v17
	v_cndmask_b32_e32 v9, v1, v9, vcc_lo
	v_add_nc_u32_e32 v5, 19, v17
	s_delay_alu instid0(VALU_DEP_3) | instskip(NEXT) | instid1(VALU_DEP_1)
	v_lshlrev_b64 v[1:2], v2, -1
	v_not_b32_e32 v6, v2
	s_delay_alu instid0(VALU_DEP_2) | instskip(NEXT) | instid1(VALU_DEP_4)
	v_not_b32_e32 v18, v1
	v_lshlrev_b64 v[1:2], v5, 1
	s_delay_alu instid0(VALU_DEP_3) | instskip(SKIP_1) | instid1(VALU_DEP_4)
	v_and_b32_e32 v6, 0, v6
	v_lshrrev_b64 v[11:12], v17, v[9:10]
	v_and_b32_e32 v5, v9, v18
	s_delay_alu instid0(VALU_DEP_1) | instskip(NEXT) | instid1(VALU_DEP_3)
	v_cmp_eq_u64_e64 s0, v[5:6], v[1:2]
	v_and_b32_e32 v9, 0x100000, v11
	v_cndmask_b32_e64 v1, v7, 0xffffff89, vcc_lo
	v_lshrrev_b32_e32 v2, 23, v11
	s_delay_alu instid0(VALU_DEP_3) | instskip(NEXT) | instid1(VALU_DEP_2)
	v_cmp_eq_u64_e64 s1, 0, v[9:10]
	v_add3_u32 v5, v1, v17, v2
	s_delay_alu instid0(VALU_DEP_2) | instskip(NEXT) | instid1(VALU_DEP_1)
	s_and_b32 vcc_lo, s1, s0
	v_add_nc_u32_e32 v7, -1, v5
	v_subrev_co_ci_u32_e32 v6, vcc_lo, 0, v11, vcc_lo
	s_mov_b32 s0, exec_lo
	s_delay_alu instid0(VALU_DEP_1) | instskip(NEXT) | instid1(VALU_DEP_1)
	v_and_b32_e32 v1, 0xfffff, v6
                                        ; implicit-def: $vgpr6
	v_add_co_u32 v1, vcc_lo, v1, v11
	v_add_co_ci_u32_e32 v2, vcc_lo, 0, v12, vcc_lo
	v_cmpx_ne_u32_e32 0, v7
	s_xor_b32 s0, exec_lo, s0
; %bb.129:                              ;   in Loop: Header=BB21_29 Depth=1
	s_delay_alu instid0(VALU_DEP_3) | instskip(SKIP_1) | instid1(VALU_DEP_2)
	v_and_b32_e32 v9, 0x1000000, v1
	v_bfe_u32 v6, v1, 24, 1
	v_cmp_eq_u64_e32 vcc_lo, 0, v[9:10]
	s_delay_alu instid0(VALU_DEP_2)
	v_lshrrev_b64 v[1:2], v6, v[1:2]
	v_cndmask_b32_e32 v6, v5, v7, vcc_lo
; %bb.130:                              ;   in Loop: Header=BB21_29 Depth=1
	s_and_not1_saveexec_b32 s0, s0
; %bb.131:                              ;   in Loop: Header=BB21_29 Depth=1
	s_delay_alu instid0(VALU_DEP_2)
	v_bfe_u32 v6, v1, 23, 1
; %bb.132:                              ;   in Loop: Header=BB21_29 Depth=1
	s_or_b32 exec_lo, exec_lo, s0
	s_delay_alu instid0(VALU_DEP_3) | instskip(NEXT) | instid1(VALU_DEP_2)
	v_lshrrev_b64 v[1:2], 20, v[1:2]
	v_cmp_gt_i32_e32 vcc_lo, 16, v6
	v_cmp_ne_u32_e64 s0, 0, v6
                                        ; implicit-def: $vgpr5
	s_delay_alu instid0(VALU_DEP_3) | instskip(NEXT) | instid1(VALU_DEP_1)
	v_dual_cndmask_b32 v2, 0, v2 :: v_dual_cndmask_b32 v1, 7, v1
	v_cmp_ne_u64_e32 vcc_lo, 0, v[1:2]
	s_delay_alu instid0(VALU_DEP_3) | instskip(NEXT) | instid1(SALU_CYCLE_1)
	s_or_b32 s0, s0, vcc_lo
	s_and_saveexec_b32 s1, s0
	s_delay_alu instid0(SALU_CYCLE_1)
	s_xor_b32 s0, exec_lo, s1
; %bb.133:                              ;   in Loop: Header=BB21_29 Depth=1
	v_min_i32_e32 v2, 15, v6
	s_delay_alu instid0(VALU_DEP_1) | instskip(NEXT) | instid1(VALU_DEP_1)
	v_lshl_or_b32 v2, v2, 3, v3
                                        ; implicit-def: $vgpr3
	v_and_or_b32 v5, v1, 7, v2
; %bb.134:                              ;   in Loop: Header=BB21_29 Depth=1
	s_and_not1_saveexec_b32 s0, s0
; %bb.135:                              ;   in Loop: Header=BB21_29 Depth=1
	v_mov_b32_e32 v5, v3
; %bb.136:                              ;   in Loop: Header=BB21_29 Depth=1
	s_or_b32 exec_lo, exec_lo, s0
.LBB21_137:                             ;   in Loop: Header=BB21_29 Depth=1
	s_delay_alu instid0(SALU_CYCLE_1)
	s_or_b32 exec_lo, exec_lo, s16
.LBB21_138:                             ;   in Loop: Header=BB21_29 Depth=1
	s_and_not1_saveexec_b32 s0, s15
	s_delay_alu instid0(SALU_CYCLE_1)
	s_or_b32 exec_lo, exec_lo, s0
                                        ; implicit-def: $vgpr6
.LBB21_139:                             ;   in Loop: Header=BB21_29 Depth=1
	s_and_not1_saveexec_b32 s0, s14
; %bb.140:                              ;   in Loop: Header=BB21_29 Depth=1
	v_cmp_eq_u64_e32 vcc_lo, 0, v[9:10]
	v_or_b32_e32 v1, 0x7f, v6
	s_delay_alu instid0(VALU_DEP_1)
	v_cndmask_b32_e32 v5, v1, v5, vcc_lo
; %bb.141:                              ;   in Loop: Header=BB21_29 Depth=1
	s_or_b32 exec_lo, exec_lo, s0
	v_and_b32_e32 v1, 0xffff0000, v8
	v_add_nc_u32_e32 v8, 6, v14
	s_mov_b32 s0, exec_lo
	v_mov_b32_e32 v7, v10
	s_delay_alu instid0(VALU_DEP_3) | instskip(SKIP_2) | instid1(VALU_DEP_1)
	v_mul_f32_e32 v1, v13, v1
	global_store_b8 v8, v5, s[2:3]
	v_bfe_u32 v2, v1, 16, 1
	v_add3_u32 v2, v1, v2, 0x7fff
	s_delay_alu instid0(VALU_DEP_1) | instskip(SKIP_1) | instid1(VALU_DEP_2)
	v_and_b32_e32 v2, 0xffff0000, v2
	v_cmp_o_f32_e32 vcc_lo, v1, v1
	v_cndmask_b32_e32 v1, 0x7fc00000, v2, vcc_lo
	v_and_b32_e32 v2, 0xffff0000, v4
	s_delay_alu instid0(VALU_DEP_1) | instskip(NEXT) | instid1(VALU_DEP_1)
	v_mul_f32_e32 v1, v1, v2
	v_bfe_u32 v2, v1, 16, 1
	v_cmp_o_f32_e32 vcc_lo, v1, v1
	s_delay_alu instid0(VALU_DEP_2) | instskip(NEXT) | instid1(VALU_DEP_1)
	v_add3_u32 v2, v1, v2, 0x7fff
	v_and_b32_e32 v2, 0xffff0000, v2
	s_delay_alu instid0(VALU_DEP_1) | instskip(NEXT) | instid1(VALU_DEP_1)
	v_cndmask_b32_e32 v1, 0x7fc00000, v2, vcc_lo
	v_mul_f32_e32 v1, v15, v1
	s_delay_alu instid0(VALU_DEP_1) | instskip(NEXT) | instid1(VALU_DEP_1)
	v_minmax_f32 v1, v1, s13, 0xc3e00000
	v_lshrrev_b32_e32 v4, 24, v1
	v_and_b32_e32 v6, 0x7f800000, v1
	v_and_b32_e32 v9, 0x7fffff, v1
	s_delay_alu instid0(VALU_DEP_3) | instskip(NEXT) | instid1(VALU_DEP_1)
	v_and_b32_e32 v3, 0x80, v4
	v_or_b32_e32 v2, 0x7e, v3
	s_delay_alu instid0(VALU_DEP_4)
	v_cmpx_ne_u64_e32 0x7f800000, v[6:7]
	s_xor_b32 s14, exec_lo, s0
	s_cbranch_execz .LBB21_155
; %bb.142:                              ;   in Loop: Header=BB21_29 Depth=1
	v_dual_mov_b32 v5, v10 :: v_dual_and_b32 v4, 0x7fffffff, v1
	s_mov_b32 s0, exec_lo
	s_delay_alu instid0(VALU_DEP_1)
	v_cmpx_gt_u64_e32 0x43e00001, v[4:5]
	s_xor_b32 s15, exec_lo, s0
	s_cbranch_execz .LBB21_154
; %bb.143:                              ;   in Loop: Header=BB21_29 Depth=1
	v_mov_b32_e32 v2, 0
	s_mov_b32 s16, exec_lo
	v_cmpx_ne_u32_e32 0, v1
	s_cbranch_execz .LBB21_153
; %bb.144:                              ;   in Loop: Header=BB21_29 Depth=1
	v_bfe_u32 v6, v1, 23, 8
	s_delay_alu instid0(VALU_DEP_1) | instskip(SKIP_2) | instid1(VALU_DEP_3)
	v_sub_nc_u32_e64 v1, 0x79, v6 clamp
	v_cmp_eq_u32_e32 vcc_lo, 0, v6
	v_add_nc_u32_e32 v6, 0xffffff88, v6
	v_cndmask_b32_e64 v11, v1, 0x78, vcc_lo
	v_or_b32_e32 v1, 0x800000, v9
	s_delay_alu instid0(VALU_DEP_1) | instskip(SKIP_1) | instid1(VALU_DEP_2)
	v_dual_cndmask_b32 v9, v1, v9 :: v_dual_add_nc_u32 v2, 20, v11
	v_add_nc_u32_e32 v4, 19, v11
	v_lshlrev_b64 v[1:2], v2, -1
	s_delay_alu instid0(VALU_DEP_3) | instskip(NEXT) | instid1(VALU_DEP_2)
	v_lshrrev_b64 v[7:8], v11, v[9:10]
	v_not_b32_e32 v5, v2
	s_delay_alu instid0(VALU_DEP_3) | instskip(SKIP_1) | instid1(VALU_DEP_3)
	v_not_b32_e32 v12, v1
	v_lshlrev_b64 v[1:2], v4, 1
	v_and_b32_e32 v5, 0, v5
	s_delay_alu instid0(VALU_DEP_3) | instskip(SKIP_1) | instid1(VALU_DEP_2)
	v_and_b32_e32 v4, v9, v12
	v_and_b32_e32 v9, 0x100000, v7
	v_cmp_eq_u64_e64 s0, v[4:5], v[1:2]
	s_delay_alu instid0(VALU_DEP_2) | instskip(SKIP_2) | instid1(VALU_DEP_3)
	v_cmp_eq_u64_e64 s1, 0, v[9:10]
	v_cndmask_b32_e64 v1, v6, 0xffffff89, vcc_lo
	v_lshrrev_b32_e32 v2, 23, v7
	s_and_b32 vcc_lo, s1, s0
	s_delay_alu instid0(VALU_DEP_1) | instskip(SKIP_2) | instid1(VALU_DEP_2)
	v_add3_u32 v5, v1, v11, v2
	v_subrev_co_ci_u32_e32 v4, vcc_lo, 0, v7, vcc_lo
	s_mov_b32 s0, exec_lo
	v_add_nc_u32_e32 v6, -1, v5
	s_delay_alu instid0(VALU_DEP_2) | instskip(NEXT) | instid1(VALU_DEP_1)
	v_and_b32_e32 v1, 0xfffff, v4
                                        ; implicit-def: $vgpr4
	v_add_co_u32 v1, vcc_lo, v1, v7
	v_add_co_ci_u32_e32 v2, vcc_lo, 0, v8, vcc_lo
	s_delay_alu instid0(VALU_DEP_4)
	v_cmpx_ne_u32_e32 0, v6
	s_xor_b32 s0, exec_lo, s0
; %bb.145:                              ;   in Loop: Header=BB21_29 Depth=1
	s_delay_alu instid0(VALU_DEP_3) | instskip(SKIP_1) | instid1(VALU_DEP_2)
	v_and_b32_e32 v9, 0x1000000, v1
	v_bfe_u32 v4, v1, 24, 1
	v_cmp_eq_u64_e32 vcc_lo, 0, v[9:10]
	s_delay_alu instid0(VALU_DEP_2)
	v_lshrrev_b64 v[1:2], v4, v[1:2]
	v_cndmask_b32_e32 v4, v5, v6, vcc_lo
; %bb.146:                              ;   in Loop: Header=BB21_29 Depth=1
	s_and_not1_saveexec_b32 s0, s0
; %bb.147:                              ;   in Loop: Header=BB21_29 Depth=1
	s_delay_alu instid0(VALU_DEP_2)
	v_bfe_u32 v4, v1, 23, 1
; %bb.148:                              ;   in Loop: Header=BB21_29 Depth=1
	s_or_b32 exec_lo, exec_lo, s0
	s_delay_alu instid0(VALU_DEP_3) | instskip(NEXT) | instid1(VALU_DEP_2)
	v_lshrrev_b64 v[1:2], 20, v[1:2]
	v_cmp_gt_i32_e32 vcc_lo, 16, v4
	v_cmp_ne_u32_e64 s0, 0, v4
	s_delay_alu instid0(VALU_DEP_3) | instskip(NEXT) | instid1(VALU_DEP_1)
	v_dual_cndmask_b32 v2, 0, v2 :: v_dual_cndmask_b32 v1, 7, v1
	v_cmp_ne_u64_e32 vcc_lo, 0, v[1:2]
                                        ; implicit-def: $vgpr2
	s_delay_alu instid0(VALU_DEP_3) | instskip(NEXT) | instid1(SALU_CYCLE_1)
	s_or_b32 s0, s0, vcc_lo
	s_and_saveexec_b32 s1, s0
	s_delay_alu instid0(SALU_CYCLE_1)
	s_xor_b32 s0, exec_lo, s1
; %bb.149:                              ;   in Loop: Header=BB21_29 Depth=1
	v_min_i32_e32 v2, 15, v4
	s_delay_alu instid0(VALU_DEP_1) | instskip(NEXT) | instid1(VALU_DEP_1)
	v_lshl_or_b32 v2, v2, 3, v3
                                        ; implicit-def: $vgpr3
	v_and_or_b32 v2, v1, 7, v2
; %bb.150:                              ;   in Loop: Header=BB21_29 Depth=1
	s_and_not1_saveexec_b32 s0, s0
; %bb.151:                              ;   in Loop: Header=BB21_29 Depth=1
	v_mov_b32_e32 v2, v3
; %bb.152:                              ;   in Loop: Header=BB21_29 Depth=1
	s_or_b32 exec_lo, exec_lo, s0
.LBB21_153:                             ;   in Loop: Header=BB21_29 Depth=1
	s_delay_alu instid0(SALU_CYCLE_1)
	s_or_b32 exec_lo, exec_lo, s16
.LBB21_154:                             ;   in Loop: Header=BB21_29 Depth=1
	s_and_not1_saveexec_b32 s0, s15
	s_delay_alu instid0(SALU_CYCLE_1)
	s_or_b32 exec_lo, exec_lo, s0
                                        ; implicit-def: $vgpr4
.LBB21_155:                             ;   in Loop: Header=BB21_29 Depth=1
	s_and_not1_saveexec_b32 s0, s14
	s_cbranch_execz .LBB21_28
; %bb.156:                              ;   in Loop: Header=BB21_29 Depth=1
	v_cmp_eq_u64_e32 vcc_lo, 0, v[9:10]
	v_or_b32_e32 v1, 0x7f, v4
	s_delay_alu instid0(VALU_DEP_1)
	v_cndmask_b32_e32 v2, v1, v2, vcc_lo
	s_branch .LBB21_28
.LBB21_157:
	s_nop 0
	s_sendmsg sendmsg(MSG_DEALLOC_VGPRS)
	s_endpgm
	.section	.rodata,"a",@progbits
	.p2align	6, 0x0
	.amdhsa_kernel _ZN4vllm32rms_norm_static_fp8_quant_kernelIN3c108BFloat16ENS1_13Float8_e4m3fnELi8EEEvPT0_PKT_iS8_PKffii
		.amdhsa_group_segment_fixed_size 132
		.amdhsa_private_segment_fixed_size 0
		.amdhsa_kernarg_size 312
		.amdhsa_user_sgpr_count 15
		.amdhsa_user_sgpr_dispatch_ptr 0
		.amdhsa_user_sgpr_queue_ptr 0
		.amdhsa_user_sgpr_kernarg_segment_ptr 1
		.amdhsa_user_sgpr_dispatch_id 0
		.amdhsa_user_sgpr_private_segment_size 0
		.amdhsa_wavefront_size32 1
		.amdhsa_uses_dynamic_stack 0
		.amdhsa_enable_private_segment 0
		.amdhsa_system_sgpr_workgroup_id_x 1
		.amdhsa_system_sgpr_workgroup_id_y 0
		.amdhsa_system_sgpr_workgroup_id_z 0
		.amdhsa_system_sgpr_workgroup_info 0
		.amdhsa_system_vgpr_workitem_id 0
		.amdhsa_next_free_vgpr 25
		.amdhsa_next_free_sgpr 20
		.amdhsa_reserve_vcc 1
		.amdhsa_float_round_mode_32 0
		.amdhsa_float_round_mode_16_64 0
		.amdhsa_float_denorm_mode_32 3
		.amdhsa_float_denorm_mode_16_64 3
		.amdhsa_dx10_clamp 1
		.amdhsa_ieee_mode 1
		.amdhsa_fp16_overflow 0
		.amdhsa_workgroup_processor_mode 1
		.amdhsa_memory_ordered 1
		.amdhsa_forward_progress 0
		.amdhsa_shared_vgpr_count 0
		.amdhsa_exception_fp_ieee_invalid_op 0
		.amdhsa_exception_fp_denorm_src 0
		.amdhsa_exception_fp_ieee_div_zero 0
		.amdhsa_exception_fp_ieee_overflow 0
		.amdhsa_exception_fp_ieee_underflow 0
		.amdhsa_exception_fp_ieee_inexact 0
		.amdhsa_exception_int_div_zero 0
	.end_amdhsa_kernel
	.section	.text._ZN4vllm32rms_norm_static_fp8_quant_kernelIN3c108BFloat16ENS1_13Float8_e4m3fnELi8EEEvPT0_PKT_iS8_PKffii,"axG",@progbits,_ZN4vllm32rms_norm_static_fp8_quant_kernelIN3c108BFloat16ENS1_13Float8_e4m3fnELi8EEEvPT0_PKT_iS8_PKffii,comdat
.Lfunc_end21:
	.size	_ZN4vllm32rms_norm_static_fp8_quant_kernelIN3c108BFloat16ENS1_13Float8_e4m3fnELi8EEEvPT0_PKT_iS8_PKffii, .Lfunc_end21-_ZN4vllm32rms_norm_static_fp8_quant_kernelIN3c108BFloat16ENS1_13Float8_e4m3fnELi8EEEvPT0_PKT_iS8_PKffii
                                        ; -- End function
	.section	.AMDGPU.csdata,"",@progbits
; Kernel info:
; codeLenInByte = 7728
; NumSgprs: 22
; NumVgprs: 25
; ScratchSize: 0
; MemoryBound: 0
; FloatMode: 240
; IeeeMode: 1
; LDSByteSize: 132 bytes/workgroup (compile time only)
; SGPRBlocks: 2
; VGPRBlocks: 3
; NumSGPRsForWavesPerEU: 22
; NumVGPRsForWavesPerEU: 25
; Occupancy: 16
; WaveLimiterHint : 0
; COMPUTE_PGM_RSRC2:SCRATCH_EN: 0
; COMPUTE_PGM_RSRC2:USER_SGPR: 15
; COMPUTE_PGM_RSRC2:TRAP_HANDLER: 0
; COMPUTE_PGM_RSRC2:TGID_X_EN: 1
; COMPUTE_PGM_RSRC2:TGID_Y_EN: 0
; COMPUTE_PGM_RSRC2:TGID_Z_EN: 0
; COMPUTE_PGM_RSRC2:TIDIG_COMP_CNT: 0
	.section	.text._ZN4vllm32rms_norm_static_fp8_quant_kernelIN3c108BFloat16ENS1_13Float8_e4m3fnELi4EEEvPT0_PKT_iS8_PKffii,"axG",@progbits,_ZN4vllm32rms_norm_static_fp8_quant_kernelIN3c108BFloat16ENS1_13Float8_e4m3fnELi4EEEvPT0_PKT_iS8_PKffii,comdat
	.protected	_ZN4vllm32rms_norm_static_fp8_quant_kernelIN3c108BFloat16ENS1_13Float8_e4m3fnELi4EEEvPT0_PKT_iS8_PKffii ; -- Begin function _ZN4vllm32rms_norm_static_fp8_quant_kernelIN3c108BFloat16ENS1_13Float8_e4m3fnELi4EEEvPT0_PKT_iS8_PKffii
	.globl	_ZN4vllm32rms_norm_static_fp8_quant_kernelIN3c108BFloat16ENS1_13Float8_e4m3fnELi4EEEvPT0_PKT_iS8_PKffii
	.p2align	8
	.type	_ZN4vllm32rms_norm_static_fp8_quant_kernelIN3c108BFloat16ENS1_13Float8_e4m3fnELi4EEEvPT0_PKT_iS8_PKffii,@function
_ZN4vllm32rms_norm_static_fp8_quant_kernelIN3c108BFloat16ENS1_13Float8_e4m3fnELi4EEEvPT0_PKT_iS8_PKffii: ; @_ZN4vllm32rms_norm_static_fp8_quant_kernelIN3c108BFloat16ENS1_13Float8_e4m3fnELi4EEEvPT0_PKT_iS8_PKffii
; %bb.0:
	s_clause 0x3
	s_load_b32 s2, s[0:1], 0x10
	s_load_b64 s[4:5], s[0:1], 0x8
	s_load_b32 s8, s[0:1], 0x44
	s_load_b32 s13, s[0:1], 0x30
	s_mov_b32 s3, 0
	s_waitcnt lgkmcnt(0)
	s_mul_i32 s2, s15, s2
	s_delay_alu instid0(SALU_CYCLE_1) | instskip(NEXT) | instid1(SALU_CYCLE_1)
	s_lshl_b64 s[6:7], s[2:3], 1
	s_add_u32 s10, s4, s6
	s_addc_u32 s11, s5, s7
	s_and_b32 s2, s10, 7
	s_and_b32 s12, s8, 0xffff
	s_cmp_lg_u64 s[2:3], 0
	s_cselect_b32 s2, -1, 0
	s_and_b32 s3, s13, 3
	s_delay_alu instid0(SALU_CYCLE_1) | instskip(SKIP_1) | instid1(SALU_CYCLE_1)
	s_cmp_lg_u32 s3, 0
	s_cselect_b32 s3, -1, 0
	s_or_b32 s2, s2, s3
	s_delay_alu instid0(SALU_CYCLE_1)
	s_and_b32 vcc_lo, exec_lo, s2
	s_cbranch_vccz .LBB22_14
; %bb.1:
	s_sub_i32 s2, 0, s10
	v_mov_b32_e32 v4, 0
	s_bfe_u32 s2, s2, 0x20001
	s_mov_b32 s3, exec_lo
	s_min_i32 s8, s2, s13
	s_delay_alu instid0(SALU_CYCLE_1)
	v_cmpx_gt_i32_e64 s8, v0
	s_cbranch_execz .LBB22_5
; %bb.2:
	v_dual_mov_b32 v4, 0 :: v_dual_lshlrev_b32 v1, 1, v0
	s_add_u32 s2, s4, s6
	s_addc_u32 s9, s5, s7
	v_mov_b32_e32 v3, v0
	s_delay_alu instid0(VALU_DEP_2) | instskip(NEXT) | instid1(VALU_DEP_1)
	v_add_co_u32 v1, s2, s2, v1
	v_add_co_ci_u32_e64 v2, null, s9, 0, s2
	s_mov_b32 s9, 0
	s_lshl_b32 s14, s12, 1
.LBB22_3:                               ; =>This Inner Loop Header: Depth=1
	global_load_u16 v5, v[1:2], off
	v_add_co_u32 v1, vcc_lo, v1, s14
	v_add_co_ci_u32_e32 v2, vcc_lo, 0, v2, vcc_lo
	s_waitcnt vmcnt(0)
	v_lshlrev_b32_e32 v5, 16, v5
	s_delay_alu instid0(VALU_DEP_1) | instskip(NEXT) | instid1(VALU_DEP_1)
	v_dual_fmac_f32 v4, v5, v5 :: v_dual_add_nc_u32 v3, s12, v3
	v_cmp_le_i32_e64 s2, s8, v3
	s_delay_alu instid0(VALU_DEP_1) | instskip(NEXT) | instid1(SALU_CYCLE_1)
	s_or_b32 s9, s2, s9
	s_and_not1_b32 exec_lo, exec_lo, s9
	s_cbranch_execnz .LBB22_3
; %bb.4:
	s_or_b32 exec_lo, exec_lo, s9
.LBB22_5:
	s_delay_alu instid0(SALU_CYCLE_1)
	s_or_b32 exec_lo, exec_lo, s3
	s_sub_i32 s3, s13, s8
	s_ashr_i32 s9, s8, 31
	s_ashr_i32 s2, s3, 31
	s_mov_b32 s16, exec_lo
	s_lshr_b32 s2, s2, 30
	s_delay_alu instid0(SALU_CYCLE_1) | instskip(NEXT) | instid1(SALU_CYCLE_1)
	s_add_i32 s2, s3, s2
	s_ashr_i32 s14, s2, 2
	s_delay_alu instid0(SALU_CYCLE_1)
	v_cmpx_gt_i32_e64 s14, v0
	s_cbranch_execz .LBB22_9
; %bb.6:
	v_lshlrev_b32_e32 v1, 3, v0
	s_lshl_b64 s[18:19], s[8:9], 1
	s_add_u32 s2, s4, s6
	s_addc_u32 s17, s5, s7
	s_add_u32 s2, s2, s18
	s_addc_u32 s17, s17, s19
	v_add_co_u32 v1, s2, s2, v1
	s_delay_alu instid0(VALU_DEP_1) | instskip(SKIP_1) | instid1(VALU_DEP_3)
	v_add_co_ci_u32_e64 v2, null, s17, 0, s2
	v_mov_b32_e32 v3, v0
	v_add_co_u32 v1, vcc_lo, v1, 4
	s_delay_alu instid0(VALU_DEP_3)
	v_add_co_ci_u32_e32 v2, vcc_lo, 0, v2, vcc_lo
	s_mov_b32 s17, 0
	s_lshl_b32 s18, s12, 3
	.p2align	6
.LBB22_7:                               ; =>This Inner Loop Header: Depth=1
	global_load_b64 v[5:6], v[1:2], off offset:-4
	v_add_co_u32 v1, vcc_lo, v1, s18
	v_add_co_ci_u32_e32 v2, vcc_lo, 0, v2, vcc_lo
	s_waitcnt vmcnt(0)
	v_lshlrev_b32_e32 v7, 16, v5
	s_delay_alu instid0(VALU_DEP_1) | instskip(NEXT) | instid1(VALU_DEP_1)
	v_dual_fmac_f32 v4, v7, v7 :: v_dual_and_b32 v5, 0xffff0000, v5
	v_dual_fmac_f32 v4, v5, v5 :: v_dual_lshlrev_b32 v7, 16, v6
	s_delay_alu instid0(VALU_DEP_1) | instskip(NEXT) | instid1(VALU_DEP_1)
	v_dual_fmac_f32 v4, v7, v7 :: v_dual_and_b32 v5, 0xffff0000, v6
	v_dual_fmac_f32 v4, v5, v5 :: v_dual_add_nc_u32 v3, s12, v3
	s_delay_alu instid0(VALU_DEP_1) | instskip(NEXT) | instid1(VALU_DEP_1)
	v_cmp_le_i32_e64 s2, s14, v3
	s_or_b32 s17, s2, s17
	s_delay_alu instid0(SALU_CYCLE_1)
	s_and_not1_b32 exec_lo, exec_lo, s17
	s_cbranch_execnz .LBB22_7
; %bb.8:
	s_or_b32 exec_lo, exec_lo, s17
.LBB22_9:
	s_delay_alu instid0(SALU_CYCLE_1) | instskip(SKIP_2) | instid1(VALU_DEP_1)
	s_or_b32 exec_lo, exec_lo, s16
	v_lshl_add_u32 v1, s14, 2, v0
	s_mov_b32 s14, exec_lo
	v_cmpx_gt_i32_e64 s3, v1
	s_cbranch_execz .LBB22_13
; %bb.10:
	v_ashrrev_i32_e32 v2, 31, v1
	s_lshl_b64 s[8:9], s[8:9], 1
	s_add_u32 s2, s4, s6
	s_addc_u32 s16, s5, s7
	s_add_u32 s2, s2, s8
	v_lshlrev_b64 v[2:3], 1, v[1:2]
	s_addc_u32 s8, s16, s9
	s_lshl_b32 s9, s12, 1
	s_delay_alu instid0(VALU_DEP_1) | instskip(NEXT) | instid1(VALU_DEP_2)
	v_add_co_u32 v2, vcc_lo, s2, v2
	v_add_co_ci_u32_e32 v3, vcc_lo, s8, v3, vcc_lo
	s_mov_b32 s8, 0
.LBB22_11:                              ; =>This Inner Loop Header: Depth=1
	global_load_u16 v5, v[2:3], off
	v_add_nc_u32_e32 v1, s12, v1
	v_add_co_u32 v2, vcc_lo, v2, s9
	v_add_co_ci_u32_e32 v3, vcc_lo, 0, v3, vcc_lo
	s_delay_alu instid0(VALU_DEP_3) | instskip(NEXT) | instid1(VALU_DEP_1)
	v_cmp_le_i32_e64 s2, s3, v1
	s_or_b32 s8, s2, s8
	s_waitcnt vmcnt(0)
	v_lshlrev_b32_e32 v5, 16, v5
	s_delay_alu instid0(VALU_DEP_1)
	v_fmac_f32_e32 v4, v5, v5
	s_and_not1_b32 exec_lo, exec_lo, s8
	s_cbranch_execnz .LBB22_11
; %bb.12:
	s_or_b32 exec_lo, exec_lo, s8
.LBB22_13:
	s_delay_alu instid0(SALU_CYCLE_1)
	s_or_b32 exec_lo, exec_lo, s14
	s_branch .LBB22_20
.LBB22_14:
                                        ; implicit-def: $vgpr4
	s_cbranch_execz .LBB22_20
; %bb.15:
	v_mov_b32_e32 v4, 0
	s_ashr_i32 s8, s13, 2
	s_mov_b32 s3, exec_lo
	v_cmpx_gt_i32_e64 s8, v0
	s_cbranch_execz .LBB22_19
; %bb.16:
	v_dual_mov_b32 v4, 0 :: v_dual_lshlrev_b32 v1, 3, v0
	s_add_u32 s2, s4, s6
	s_addc_u32 s4, s5, s7
	v_mov_b32_e32 v3, v0
	s_delay_alu instid0(VALU_DEP_2) | instskip(NEXT) | instid1(VALU_DEP_1)
	v_add_co_u32 v1, s2, s2, v1
	v_add_co_ci_u32_e64 v2, null, s4, 0, s2
	s_mov_b32 s4, 0
	s_lshl_b32 s5, s12, 3
	.p2align	6
.LBB22_17:                              ; =>This Inner Loop Header: Depth=1
	global_load_b64 v[5:6], v[1:2], off
	v_add_co_u32 v1, vcc_lo, v1, s5
	v_add_co_ci_u32_e32 v2, vcc_lo, 0, v2, vcc_lo
	s_waitcnt vmcnt(0)
	v_and_b32_e32 v8, 0xffff0000, v5
	v_lshlrev_b32_e32 v7, 16, v5
	v_alignbit_b32 v5, v6, v5, 16
	v_and_b32_e32 v6, 0xffff0000, v6
	s_delay_alu instid0(VALU_DEP_2) | instskip(NEXT) | instid1(VALU_DEP_1)
	v_dual_fmac_f32 v4, v7, v7 :: v_dual_and_b32 v5, 0xffff0000, v5
	v_dual_fmac_f32 v4, v8, v8 :: v_dual_add_nc_u32 v3, s12, v3
	s_delay_alu instid0(VALU_DEP_1) | instskip(NEXT) | instid1(VALU_DEP_2)
	v_fmac_f32_e32 v4, v5, v5
	v_cmp_le_i32_e64 s2, s8, v3
	s_delay_alu instid0(VALU_DEP_2) | instskip(NEXT) | instid1(VALU_DEP_2)
	v_fmac_f32_e32 v4, v6, v6
	s_or_b32 s4, s2, s4
	s_delay_alu instid0(SALU_CYCLE_1)
	s_and_not1_b32 exec_lo, exec_lo, s4
	s_cbranch_execnz .LBB22_17
; %bb.18:
	s_or_b32 exec_lo, exec_lo, s4
.LBB22_19:
	s_delay_alu instid0(SALU_CYCLE_1)
	s_or_b32 exec_lo, exec_lo, s3
.LBB22_20:
	v_mbcnt_lo_u32_b32 v1, -1, 0
	v_and_b32_e32 v3, 0x3e0, v0
	s_mov_b32 s2, exec_lo
	s_delay_alu instid0(VALU_DEP_2) | instskip(NEXT) | instid1(VALU_DEP_2)
	v_cmp_ne_u32_e32 vcc_lo, 31, v1
	v_sub_nc_u32_e64 v12, s12, v3 clamp
	v_add_nc_u32_e32 v3, 1, v1
	v_add_co_ci_u32_e32 v2, vcc_lo, 0, v1, vcc_lo
	v_cmp_gt_u32_e32 vcc_lo, 30, v1
	s_delay_alu instid0(VALU_DEP_2)
	v_lshlrev_b32_e32 v2, 2, v2
	v_cndmask_b32_e64 v6, 0, 1, vcc_lo
	v_cmp_lt_u32_e32 vcc_lo, v3, v12
	ds_bpermute_b32 v5, v2, v4
	s_waitcnt lgkmcnt(0)
	v_dual_add_f32 v7, v4, v5 :: v_dual_lshlrev_b32 v6, 1, v6
	s_delay_alu instid0(VALU_DEP_1) | instskip(NEXT) | instid1(VALU_DEP_2)
	v_cndmask_b32_e32 v7, v4, v7, vcc_lo
	v_add_lshl_u32 v5, v6, v1, 2
	v_cmp_gt_u32_e32 vcc_lo, 28, v1
	ds_bpermute_b32 v6, v5, v7
	v_cndmask_b32_e64 v4, 0, 1, vcc_lo
	s_delay_alu instid0(VALU_DEP_1) | instskip(SKIP_1) | instid1(VALU_DEP_1)
	v_lshlrev_b32_e32 v8, 2, v4
	v_add_nc_u32_e32 v4, 2, v1
	v_cmp_lt_u32_e32 vcc_lo, v4, v12
	s_waitcnt lgkmcnt(0)
	v_add_f32_e32 v9, v7, v6
	v_add_lshl_u32 v6, v8, v1, 2
	s_delay_alu instid0(VALU_DEP_2) | instskip(SKIP_2) | instid1(VALU_DEP_1)
	v_cndmask_b32_e32 v9, v7, v9, vcc_lo
	v_cmp_gt_u32_e32 vcc_lo, 24, v1
	v_cndmask_b32_e64 v7, 0, 1, vcc_lo
	v_lshlrev_b32_e32 v10, 3, v7
	ds_bpermute_b32 v8, v6, v9
	v_add_nc_u32_e32 v7, 4, v1
	s_delay_alu instid0(VALU_DEP_1) | instskip(SKIP_3) | instid1(VALU_DEP_2)
	v_cmp_lt_u32_e32 vcc_lo, v7, v12
	s_waitcnt lgkmcnt(0)
	v_add_f32_e32 v11, v9, v8
	v_add_lshl_u32 v8, v10, v1, 2
	v_cndmask_b32_e32 v11, v9, v11, vcc_lo
	v_cmp_gt_u32_e32 vcc_lo, 16, v1
	ds_bpermute_b32 v10, v8, v11
	v_cndmask_b32_e64 v9, 0, 1, vcc_lo
	s_delay_alu instid0(VALU_DEP_1) | instskip(SKIP_1) | instid1(VALU_DEP_1)
	v_lshlrev_b32_e32 v13, 4, v9
	v_add_nc_u32_e32 v9, 8, v1
	v_cmp_lt_u32_e32 vcc_lo, v9, v12
	s_waitcnt lgkmcnt(0)
	v_add_f32_e32 v14, v11, v10
	v_add_lshl_u32 v10, v13, v1, 2
	s_delay_alu instid0(VALU_DEP_2)
	v_cndmask_b32_e32 v13, v11, v14, vcc_lo
	v_add_nc_u32_e32 v11, 16, v1
	ds_bpermute_b32 v14, v10, v13
	v_cmp_lt_u32_e32 vcc_lo, v11, v12
	s_waitcnt lgkmcnt(0)
	v_add_f32_e32 v14, v13, v14
	s_delay_alu instid0(VALU_DEP_1)
	v_cndmask_b32_e32 v12, v13, v14, vcc_lo
	v_cmpx_eq_u32_e32 0, v1
	s_cbranch_execz .LBB22_22
; %bb.21:
	v_lshrrev_b32_e32 v13, 3, v0
	s_delay_alu instid0(VALU_DEP_1)
	v_and_b32_e32 v13, 0x7c, v13
	ds_store_b32 v13, v12
.LBB22_22:
	s_or_b32 exec_lo, exec_lo, s2
	s_delay_alu instid0(SALU_CYCLE_1)
	s_mov_b32 s2, exec_lo
	s_waitcnt lgkmcnt(0)
	s_barrier
	buffer_gl0_inv
	v_cmpx_gt_u32_e32 32, v0
	s_cbranch_execz .LBB22_24
; %bb.23:
	v_lshlrev_b32_e32 v1, 2, v1
	s_add_i32 s3, s12, 31
	s_delay_alu instid0(SALU_CYCLE_1) | instskip(NEXT) | instid1(SALU_CYCLE_1)
	s_lshr_b32 s3, s3, 5
	v_cmp_gt_u32_e32 vcc_lo, s3, v3
	ds_load_b32 v1, v1
	s_waitcnt lgkmcnt(0)
	ds_bpermute_b32 v2, v2, v1
	s_waitcnt lgkmcnt(0)
	v_add_f32_e32 v2, v1, v2
	s_delay_alu instid0(VALU_DEP_1) | instskip(SKIP_4) | instid1(VALU_DEP_1)
	v_cndmask_b32_e32 v1, v1, v2, vcc_lo
	v_cmp_gt_u32_e32 vcc_lo, s3, v4
	ds_bpermute_b32 v2, v5, v1
	s_waitcnt lgkmcnt(0)
	v_add_f32_e32 v2, v1, v2
	v_cndmask_b32_e32 v1, v1, v2, vcc_lo
	v_cmp_gt_u32_e32 vcc_lo, s3, v7
	ds_bpermute_b32 v2, v6, v1
	s_waitcnt lgkmcnt(0)
	v_add_f32_e32 v2, v1, v2
	s_delay_alu instid0(VALU_DEP_1) | instskip(SKIP_4) | instid1(VALU_DEP_1)
	v_cndmask_b32_e32 v1, v1, v2, vcc_lo
	v_cmp_gt_u32_e32 vcc_lo, s3, v9
	ds_bpermute_b32 v2, v8, v1
	s_waitcnt lgkmcnt(0)
	v_add_f32_e32 v2, v1, v2
	v_cndmask_b32_e32 v1, v1, v2, vcc_lo
	v_cmp_gt_u32_e32 vcc_lo, s3, v11
	ds_bpermute_b32 v2, v10, v1
	s_waitcnt lgkmcnt(0)
	v_add_f32_e32 v2, v1, v2
	s_delay_alu instid0(VALU_DEP_1)
	v_cndmask_b32_e32 v12, v1, v2, vcc_lo
.LBB22_24:
	s_or_b32 exec_lo, exec_lo, s2
	s_delay_alu instid0(SALU_CYCLE_1)
	s_mov_b32 s2, exec_lo
	v_cmpx_eq_u32_e32 0, v0
	s_cbranch_execz .LBB22_26
; %bb.25:
	v_cvt_f32_i32_e32 v1, s13
	s_load_b32 s3, s[0:1], 0x28
	s_delay_alu instid0(VALU_DEP_1) | instskip(SKIP_1) | instid1(VALU_DEP_2)
	v_div_scale_f32 v2, null, v1, v1, v12
	v_div_scale_f32 v5, vcc_lo, v12, v1, v12
	v_rcp_f32_e32 v3, v2
	s_waitcnt_depctr 0xfff
	v_fma_f32 v4, -v2, v3, 1.0
	s_delay_alu instid0(VALU_DEP_1) | instskip(NEXT) | instid1(VALU_DEP_1)
	v_fmac_f32_e32 v3, v4, v3
	v_mul_f32_e32 v4, v5, v3
	s_delay_alu instid0(VALU_DEP_1) | instskip(NEXT) | instid1(VALU_DEP_1)
	v_fma_f32 v6, -v2, v4, v5
	v_fmac_f32_e32 v4, v6, v3
	s_delay_alu instid0(VALU_DEP_1) | instskip(NEXT) | instid1(VALU_DEP_1)
	v_fma_f32 v2, -v2, v4, v5
	v_div_fmas_f32 v2, v2, v3, v4
	s_delay_alu instid0(VALU_DEP_1) | instskip(SKIP_1) | instid1(VALU_DEP_1)
	v_div_fixup_f32 v1, v2, v1, v12
	s_waitcnt lgkmcnt(0)
	v_add_f32_e32 v1, s3, v1
	s_delay_alu instid0(VALU_DEP_1) | instskip(SKIP_1) | instid1(VALU_DEP_2)
	v_mul_f32_e32 v2, 0x4b800000, v1
	v_cmp_gt_f32_e32 vcc_lo, 0x800000, v1
	v_cndmask_b32_e32 v1, v1, v2, vcc_lo
	s_delay_alu instid0(VALU_DEP_1) | instskip(SKIP_2) | instid1(VALU_DEP_1)
	v_rsq_f32_e32 v1, v1
	s_waitcnt_depctr 0xfff
	v_mul_f32_e32 v2, 0x45800000, v1
	v_dual_cndmask_b32 v1, v1, v2 :: v_dual_mov_b32 v2, 0
	ds_store_b32 v2, v1 offset:128
.LBB22_26:
	s_or_b32 exec_lo, exec_lo, s2
	s_ashr_i32 s2, s13, 31
	s_waitcnt lgkmcnt(0)
	s_lshr_b32 s2, s2, 30
	s_barrier
	s_add_i32 s2, s13, s2
	buffer_gl0_inv
	s_ashr_i32 s8, s2, 2
	s_mov_b32 s2, exec_lo
	v_cmpx_gt_i32_e64 s8, v0
	s_cbranch_execz .LBB22_93
; %bb.27:
	s_clause 0x1
	s_load_b128 s[4:7], s[0:1], 0x18
	s_load_b64 s[2:3], s[0:1], 0x0
	s_mul_i32 s15, s15, s13
	s_lshl_b32 s9, s12, 3
	v_lshl_add_u32 v12, v0, 2, s15
	s_mov_b32 s13, 0x43e00000
	s_waitcnt lgkmcnt(0)
	s_load_b32 s7, s[6:7], 0x0
	s_lshl_b32 s6, s12, 2
	s_waitcnt lgkmcnt(0)
	v_div_scale_f32 v1, null, s7, s7, 1.0
	v_div_scale_f32 v4, vcc_lo, 1.0, s7, 1.0
	s_delay_alu instid0(VALU_DEP_2) | instskip(SKIP_2) | instid1(VALU_DEP_1)
	v_rcp_f32_e32 v3, v1
	s_waitcnt_depctr 0xfff
	v_fma_f32 v2, -v1, v3, 1.0
	v_dual_fmac_f32 v3, v2, v3 :: v_dual_mov_b32 v2, 0
	s_delay_alu instid0(VALU_DEP_1) | instskip(SKIP_2) | instid1(VALU_DEP_1)
	v_mul_f32_e32 v5, v4, v3
	ds_load_b32 v11, v2 offset:128
	v_fma_f32 v6, -v1, v5, v4
	v_fmac_f32_e32 v5, v6, v3
	s_delay_alu instid0(VALU_DEP_1) | instskip(NEXT) | instid1(VALU_DEP_1)
	v_fma_f32 v1, -v1, v5, v4
	v_div_fmas_f32 v3, v1, v3, v5
	v_lshlrev_b32_e32 v1, 3, v0
	s_delay_alu instid0(VALU_DEP_2) | instskip(NEXT) | instid1(VALU_DEP_2)
	v_div_fixup_f32 v13, v3, s7, 1.0
	v_dual_mov_b32 v4, v2 :: v_dual_mov_b32 v3, v1
	s_mov_b32 s7, 0
	s_branch .LBB22_29
.LBB22_28:                              ;   in Loop: Header=BB22_29 Depth=1
	s_or_b32 exec_lo, exec_lo, s0
	v_add_nc_u32_e32 v0, s12, v0
	v_add_co_u32 v3, s0, v3, s9
	v_add_nc_u32_e32 v1, 3, v12
	v_add_nc_u32_e32 v12, s6, v12
	s_delay_alu instid0(VALU_DEP_4) | instskip(SKIP_3) | instid1(SALU_CYCLE_1)
	v_cmp_le_i32_e32 vcc_lo, s8, v0
	v_add_co_ci_u32_e64 v4, s0, 0, v4, s0
	global_store_b8 v1, v6, s[2:3]
	s_or_b32 s7, vcc_lo, s7
	s_and_not1_b32 exec_lo, exec_lo, s7
	s_cbranch_execz .LBB22_93
.LBB22_29:                              ; =>This Inner Loop Header: Depth=1
	s_delay_alu instid0(VALU_DEP_1) | instskip(NEXT) | instid1(VALU_DEP_2)
	v_add_co_u32 v5, vcc_lo, s10, v3
	v_add_co_ci_u32_e32 v6, vcc_lo, s11, v4, vcc_lo
	v_mov_b32_e32 v16, v2
	global_load_b64 v[7:8], v[5:6], off
	v_add_co_u32 v5, vcc_lo, s4, v3
	v_add_co_ci_u32_e32 v6, vcc_lo, s5, v4, vcc_lo
	global_load_b64 v[5:6], v[5:6], off
	s_waitcnt vmcnt(1)
	v_lshlrev_b32_e32 v1, 16, v7
	s_waitcnt lgkmcnt(0)
	s_delay_alu instid0(VALU_DEP_1) | instskip(NEXT) | instid1(VALU_DEP_1)
	v_mul_f32_e32 v1, v11, v1
	v_bfe_u32 v9, v1, 16, 1
	v_cmp_o_f32_e32 vcc_lo, v1, v1
	s_delay_alu instid0(VALU_DEP_2) | instskip(NEXT) | instid1(VALU_DEP_1)
	v_add3_u32 v9, v1, v9, 0x7fff
	v_and_b32_e32 v9, 0xffff0000, v9
	s_delay_alu instid0(VALU_DEP_1) | instskip(SKIP_2) | instid1(VALU_DEP_1)
	v_cndmask_b32_e32 v1, 0x7fc00000, v9, vcc_lo
	s_waitcnt vmcnt(0)
	v_lshlrev_b32_e32 v9, 16, v5
	v_mul_f32_e32 v1, v1, v9
	s_delay_alu instid0(VALU_DEP_1) | instskip(SKIP_1) | instid1(VALU_DEP_2)
	v_bfe_u32 v9, v1, 16, 1
	v_cmp_o_f32_e32 vcc_lo, v1, v1
	v_add3_u32 v9, v1, v9, 0x7fff
	s_delay_alu instid0(VALU_DEP_1) | instskip(NEXT) | instid1(VALU_DEP_1)
	v_and_b32_e32 v9, 0xffff0000, v9
	v_cndmask_b32_e32 v1, 0x7fc00000, v9, vcc_lo
	s_delay_alu instid0(VALU_DEP_1) | instskip(NEXT) | instid1(VALU_DEP_1)
	v_mul_f32_e32 v1, v13, v1
	v_minmax_f32 v9, v1, s13, 0xc3e00000
	s_delay_alu instid0(VALU_DEP_1) | instskip(SKIP_2) | instid1(VALU_DEP_3)
	v_lshrrev_b32_e32 v10, 24, v9
	v_and_b32_e32 v15, 0x7f800000, v9
	v_and_b32_e32 v1, 0x7fffff, v9
	;; [unrolled: 1-line block ×3, first 2 shown]
	s_delay_alu instid0(VALU_DEP_3) | instskip(NEXT) | instid1(VALU_DEP_2)
	v_cmp_ne_u64_e32 vcc_lo, 0x7f800000, v[15:16]
	v_or_b32_e32 v15, 0x7e, v14
	s_and_saveexec_b32 s0, vcc_lo
	s_delay_alu instid0(SALU_CYCLE_1)
	s_xor_b32 s14, exec_lo, s0
	s_cbranch_execz .LBB22_43
; %bb.30:                               ;   in Loop: Header=BB22_29 Depth=1
	v_dual_mov_b32 v17, v2 :: v_dual_and_b32 v16, 0x7fffffff, v9
	s_mov_b32 s0, exec_lo
	s_delay_alu instid0(VALU_DEP_1)
	v_cmpx_gt_u64_e32 0x43e00001, v[16:17]
	s_xor_b32 s15, exec_lo, s0
	s_cbranch_execz .LBB22_42
; %bb.31:                               ;   in Loop: Header=BB22_29 Depth=1
	v_mov_b32_e32 v15, 0
	s_mov_b32 s16, exec_lo
	v_cmpx_ne_u32_e32 0, v9
	s_cbranch_execz .LBB22_41
; %bb.32:                               ;   in Loop: Header=BB22_29 Depth=1
	v_bfe_u32 v19, v9, 23, 8
	s_delay_alu instid0(VALU_DEP_1) | instskip(SKIP_2) | instid1(VALU_DEP_3)
	v_sub_nc_u32_e64 v9, 0x79, v19 clamp
	v_cmp_eq_u32_e32 vcc_lo, 0, v19
	v_add_nc_u32_e32 v19, 0xffffff88, v19
	v_cndmask_b32_e64 v20, v9, 0x78, vcc_lo
	v_or_b32_e32 v9, 0x800000, v1
	s_delay_alu instid0(VALU_DEP_1) | instskip(SKIP_1) | instid1(VALU_DEP_2)
	v_dual_cndmask_b32 v1, v9, v1 :: v_dual_add_nc_u32 v10, 20, v20
	v_add_nc_u32_e32 v15, 19, v20
	v_lshlrev_b64 v[9:10], v10, -1
	s_delay_alu instid0(VALU_DEP_3) | instskip(NEXT) | instid1(VALU_DEP_2)
	v_lshrrev_b64 v[17:18], v20, v[1:2]
	v_not_b32_e32 v16, v10
	s_delay_alu instid0(VALU_DEP_3) | instskip(SKIP_1) | instid1(VALU_DEP_3)
	v_not_b32_e32 v21, v9
	v_lshlrev_b64 v[9:10], v15, 1
	v_and_b32_e32 v16, 0, v16
	s_delay_alu instid0(VALU_DEP_3) | instskip(SKIP_1) | instid1(VALU_DEP_2)
	v_and_b32_e32 v15, v1, v21
	v_and_b32_e32 v1, 0x100000, v17
	v_cmp_eq_u64_e64 s0, v[15:16], v[9:10]
	s_delay_alu instid0(VALU_DEP_2) | instskip(SKIP_2) | instid1(VALU_DEP_3)
	v_cmp_eq_u64_e64 s1, 0, v[1:2]
	v_cndmask_b32_e64 v1, v19, 0xffffff89, vcc_lo
	v_lshrrev_b32_e32 v9, 23, v17
	s_and_b32 vcc_lo, s1, s0
	s_delay_alu instid0(VALU_DEP_1) | instskip(SKIP_2) | instid1(VALU_DEP_2)
	v_add3_u32 v15, v1, v20, v9
	v_subrev_co_ci_u32_e32 v10, vcc_lo, 0, v17, vcc_lo
	s_mov_b32 s0, exec_lo
	v_add_nc_u32_e32 v16, -1, v15
	s_delay_alu instid0(VALU_DEP_2) | instskip(NEXT) | instid1(VALU_DEP_1)
	v_and_b32_e32 v1, 0xfffff, v10
	v_add_co_u32 v9, vcc_lo, v1, v17
	v_add_co_ci_u32_e32 v10, vcc_lo, 0, v18, vcc_lo
                                        ; implicit-def: $vgpr1
	s_delay_alu instid0(VALU_DEP_4)
	v_cmpx_ne_u32_e32 0, v16
	s_xor_b32 s0, exec_lo, s0
; %bb.33:                               ;   in Loop: Header=BB22_29 Depth=1
	s_delay_alu instid0(VALU_DEP_3) | instskip(SKIP_1) | instid1(VALU_DEP_2)
	v_and_b32_e32 v1, 0x1000000, v9
	v_bfe_u32 v17, v9, 24, 1
	v_cmp_eq_u64_e32 vcc_lo, 0, v[1:2]
	s_delay_alu instid0(VALU_DEP_2)
	v_lshrrev_b64 v[9:10], v17, v[9:10]
	v_cndmask_b32_e32 v1, v15, v16, vcc_lo
; %bb.34:                               ;   in Loop: Header=BB22_29 Depth=1
	s_and_not1_saveexec_b32 s0, s0
; %bb.35:                               ;   in Loop: Header=BB22_29 Depth=1
	s_delay_alu instid0(VALU_DEP_2)
	v_bfe_u32 v1, v9, 23, 1
; %bb.36:                               ;   in Loop: Header=BB22_29 Depth=1
	s_or_b32 exec_lo, exec_lo, s0
	s_delay_alu instid0(VALU_DEP_3) | instskip(NEXT) | instid1(VALU_DEP_2)
	v_lshrrev_b64 v[9:10], 20, v[9:10]
	v_cmp_gt_i32_e32 vcc_lo, 16, v1
	v_cmp_ne_u32_e64 s0, 0, v1
                                        ; implicit-def: $vgpr15
	s_delay_alu instid0(VALU_DEP_3) | instskip(NEXT) | instid1(VALU_DEP_1)
	v_dual_cndmask_b32 v10, 0, v10 :: v_dual_cndmask_b32 v9, 7, v9
	v_cmp_ne_u64_e32 vcc_lo, 0, v[9:10]
	s_delay_alu instid0(VALU_DEP_3) | instskip(NEXT) | instid1(SALU_CYCLE_1)
	s_or_b32 s0, s0, vcc_lo
	s_and_saveexec_b32 s1, s0
	s_delay_alu instid0(SALU_CYCLE_1)
	s_xor_b32 s0, exec_lo, s1
; %bb.37:                               ;   in Loop: Header=BB22_29 Depth=1
	v_min_i32_e32 v1, 15, v1
	s_delay_alu instid0(VALU_DEP_1) | instskip(NEXT) | instid1(VALU_DEP_1)
	v_lshl_or_b32 v1, v1, 3, v14
                                        ; implicit-def: $vgpr14
	v_and_or_b32 v15, v9, 7, v1
; %bb.38:                               ;   in Loop: Header=BB22_29 Depth=1
	s_and_not1_saveexec_b32 s0, s0
; %bb.39:                               ;   in Loop: Header=BB22_29 Depth=1
	v_mov_b32_e32 v15, v14
; %bb.40:                               ;   in Loop: Header=BB22_29 Depth=1
	s_or_b32 exec_lo, exec_lo, s0
.LBB22_41:                              ;   in Loop: Header=BB22_29 Depth=1
	s_delay_alu instid0(SALU_CYCLE_1)
	s_or_b32 exec_lo, exec_lo, s16
.LBB22_42:                              ;   in Loop: Header=BB22_29 Depth=1
	s_and_not1_saveexec_b32 s0, s15
	s_delay_alu instid0(SALU_CYCLE_1)
	s_or_b32 exec_lo, exec_lo, s0
                                        ; implicit-def: $vgpr10
.LBB22_43:                              ;   in Loop: Header=BB22_29 Depth=1
	s_and_not1_saveexec_b32 s0, s14
; %bb.44:                               ;   in Loop: Header=BB22_29 Depth=1
	v_cmp_eq_u64_e32 vcc_lo, 0, v[1:2]
	v_or_b32_e32 v9, 0x7f, v10
	s_delay_alu instid0(VALU_DEP_1)
	v_cndmask_b32_e32 v15, v9, v15, vcc_lo
; %bb.45:                               ;   in Loop: Header=BB22_29 Depth=1
	s_or_b32 exec_lo, exec_lo, s0
	v_dual_mov_b32 v18, v2 :: v_dual_and_b32 v1, 0xffff0000, v7
	v_and_b32_e32 v10, 0xffff0000, v5
	global_store_b8 v12, v15, s[2:3]
	s_mov_b32 s0, exec_lo
	v_mul_f32_e32 v1, v11, v1
	s_delay_alu instid0(VALU_DEP_1) | instskip(SKIP_1) | instid1(VALU_DEP_2)
	v_bfe_u32 v9, v1, 16, 1
	v_cmp_o_f32_e32 vcc_lo, v1, v1
	v_add3_u32 v9, v1, v9, 0x7fff
	s_delay_alu instid0(VALU_DEP_1) | instskip(NEXT) | instid1(VALU_DEP_1)
	v_and_b32_e32 v9, 0xffff0000, v9
	v_cndmask_b32_e32 v1, 0x7fc00000, v9, vcc_lo
	s_delay_alu instid0(VALU_DEP_1) | instskip(NEXT) | instid1(VALU_DEP_1)
	v_mul_f32_e32 v1, v1, v10
	v_bfe_u32 v9, v1, 16, 1
	v_cmp_o_f32_e32 vcc_lo, v1, v1
	s_delay_alu instid0(VALU_DEP_2) | instskip(NEXT) | instid1(VALU_DEP_1)
	v_add3_u32 v9, v1, v9, 0x7fff
	v_and_b32_e32 v9, 0xffff0000, v9
	s_delay_alu instid0(VALU_DEP_1) | instskip(NEXT) | instid1(VALU_DEP_1)
	v_cndmask_b32_e32 v1, 0x7fc00000, v9, vcc_lo
	v_mul_f32_e32 v1, v13, v1
	s_delay_alu instid0(VALU_DEP_1) | instskip(NEXT) | instid1(VALU_DEP_1)
	v_minmax_f32 v9, v1, s13, 0xc3e00000
	v_lshrrev_b32_e32 v16, 24, v9
	v_and_b32_e32 v17, 0x7f800000, v9
	v_and_b32_e32 v1, 0x7fffff, v9
	s_delay_alu instid0(VALU_DEP_3) | instskip(NEXT) | instid1(VALU_DEP_1)
	v_and_b32_e32 v14, 0x80, v16
	v_or_b32_e32 v10, 0x7e, v14
	s_delay_alu instid0(VALU_DEP_4)
	v_cmpx_ne_u64_e32 0x7f800000, v[17:18]
	s_xor_b32 s14, exec_lo, s0
	s_cbranch_execz .LBB22_59
; %bb.46:                               ;   in Loop: Header=BB22_29 Depth=1
	v_dual_mov_b32 v16, v2 :: v_dual_and_b32 v15, 0x7fffffff, v9
	s_mov_b32 s0, exec_lo
	s_delay_alu instid0(VALU_DEP_1)
	v_cmpx_gt_u64_e32 0x43e00001, v[15:16]
	s_xor_b32 s15, exec_lo, s0
	s_cbranch_execz .LBB22_58
; %bb.47:                               ;   in Loop: Header=BB22_29 Depth=1
	v_mov_b32_e32 v10, 0
	s_mov_b32 s16, exec_lo
	v_cmpx_ne_u32_e32 0, v9
	s_cbranch_execz .LBB22_57
; %bb.48:                               ;   in Loop: Header=BB22_29 Depth=1
	v_bfe_u32 v19, v9, 23, 8
	s_delay_alu instid0(VALU_DEP_1) | instskip(SKIP_2) | instid1(VALU_DEP_3)
	v_sub_nc_u32_e64 v9, 0x79, v19 clamp
	v_cmp_eq_u32_e32 vcc_lo, 0, v19
	v_add_nc_u32_e32 v19, 0xffffff88, v19
	v_cndmask_b32_e64 v20, v9, 0x78, vcc_lo
	v_or_b32_e32 v9, 0x800000, v1
	s_delay_alu instid0(VALU_DEP_1) | instskip(SKIP_1) | instid1(VALU_DEP_2)
	v_dual_cndmask_b32 v1, v9, v1 :: v_dual_add_nc_u32 v10, 20, v20
	v_add_nc_u32_e32 v15, 19, v20
	v_lshlrev_b64 v[9:10], v10, -1
	s_delay_alu instid0(VALU_DEP_3) | instskip(NEXT) | instid1(VALU_DEP_2)
	v_lshrrev_b64 v[17:18], v20, v[1:2]
	v_not_b32_e32 v16, v10
	s_delay_alu instid0(VALU_DEP_3) | instskip(SKIP_1) | instid1(VALU_DEP_3)
	v_not_b32_e32 v21, v9
	v_lshlrev_b64 v[9:10], v15, 1
	v_and_b32_e32 v16, 0, v16
	s_delay_alu instid0(VALU_DEP_3) | instskip(SKIP_1) | instid1(VALU_DEP_2)
	v_and_b32_e32 v15, v1, v21
	v_and_b32_e32 v1, 0x100000, v17
	v_cmp_eq_u64_e64 s0, v[15:16], v[9:10]
	s_delay_alu instid0(VALU_DEP_2) | instskip(SKIP_2) | instid1(VALU_DEP_3)
	v_cmp_eq_u64_e64 s1, 0, v[1:2]
	v_cndmask_b32_e64 v1, v19, 0xffffff89, vcc_lo
	v_lshrrev_b32_e32 v9, 23, v17
	s_and_b32 vcc_lo, s1, s0
	s_delay_alu instid0(VALU_DEP_1) | instskip(SKIP_2) | instid1(VALU_DEP_2)
	v_add3_u32 v15, v1, v20, v9
	v_subrev_co_ci_u32_e32 v10, vcc_lo, 0, v17, vcc_lo
	s_mov_b32 s0, exec_lo
	v_add_nc_u32_e32 v16, -1, v15
	s_delay_alu instid0(VALU_DEP_2) | instskip(NEXT) | instid1(VALU_DEP_1)
	v_and_b32_e32 v1, 0xfffff, v10
	v_add_co_u32 v9, vcc_lo, v1, v17
	v_add_co_ci_u32_e32 v10, vcc_lo, 0, v18, vcc_lo
                                        ; implicit-def: $vgpr1
	s_delay_alu instid0(VALU_DEP_4)
	v_cmpx_ne_u32_e32 0, v16
	s_xor_b32 s0, exec_lo, s0
; %bb.49:                               ;   in Loop: Header=BB22_29 Depth=1
	s_delay_alu instid0(VALU_DEP_3) | instskip(SKIP_1) | instid1(VALU_DEP_2)
	v_and_b32_e32 v1, 0x1000000, v9
	v_bfe_u32 v17, v9, 24, 1
	v_cmp_eq_u64_e32 vcc_lo, 0, v[1:2]
	s_delay_alu instid0(VALU_DEP_2)
	v_lshrrev_b64 v[9:10], v17, v[9:10]
	v_cndmask_b32_e32 v1, v15, v16, vcc_lo
; %bb.50:                               ;   in Loop: Header=BB22_29 Depth=1
	s_and_not1_saveexec_b32 s0, s0
; %bb.51:                               ;   in Loop: Header=BB22_29 Depth=1
	s_delay_alu instid0(VALU_DEP_2)
	v_bfe_u32 v1, v9, 23, 1
; %bb.52:                               ;   in Loop: Header=BB22_29 Depth=1
	s_or_b32 exec_lo, exec_lo, s0
	s_delay_alu instid0(VALU_DEP_3) | instskip(NEXT) | instid1(VALU_DEP_2)
	v_lshrrev_b64 v[9:10], 20, v[9:10]
	v_cmp_gt_i32_e32 vcc_lo, 16, v1
	v_cmp_ne_u32_e64 s0, 0, v1
	s_delay_alu instid0(VALU_DEP_3) | instskip(NEXT) | instid1(VALU_DEP_1)
	v_dual_cndmask_b32 v10, 0, v10 :: v_dual_cndmask_b32 v9, 7, v9
	v_cmp_ne_u64_e32 vcc_lo, 0, v[9:10]
                                        ; implicit-def: $vgpr10
	s_delay_alu instid0(VALU_DEP_3) | instskip(NEXT) | instid1(SALU_CYCLE_1)
	s_or_b32 s0, s0, vcc_lo
	s_and_saveexec_b32 s1, s0
	s_delay_alu instid0(SALU_CYCLE_1)
	s_xor_b32 s0, exec_lo, s1
; %bb.53:                               ;   in Loop: Header=BB22_29 Depth=1
	v_min_i32_e32 v1, 15, v1
	s_delay_alu instid0(VALU_DEP_1) | instskip(NEXT) | instid1(VALU_DEP_1)
	v_lshl_or_b32 v1, v1, 3, v14
                                        ; implicit-def: $vgpr14
	v_and_or_b32 v10, v9, 7, v1
; %bb.54:                               ;   in Loop: Header=BB22_29 Depth=1
	s_and_not1_saveexec_b32 s0, s0
; %bb.55:                               ;   in Loop: Header=BB22_29 Depth=1
	v_mov_b32_e32 v10, v14
; %bb.56:                               ;   in Loop: Header=BB22_29 Depth=1
	s_or_b32 exec_lo, exec_lo, s0
.LBB22_57:                              ;   in Loop: Header=BB22_29 Depth=1
	s_delay_alu instid0(SALU_CYCLE_1)
	s_or_b32 exec_lo, exec_lo, s16
.LBB22_58:                              ;   in Loop: Header=BB22_29 Depth=1
	s_and_not1_saveexec_b32 s0, s15
	s_delay_alu instid0(SALU_CYCLE_1)
	s_or_b32 exec_lo, exec_lo, s0
                                        ; implicit-def: $vgpr16
.LBB22_59:                              ;   in Loop: Header=BB22_29 Depth=1
	s_and_not1_saveexec_b32 s0, s14
; %bb.60:                               ;   in Loop: Header=BB22_29 Depth=1
	v_cmp_eq_u64_e32 vcc_lo, 0, v[1:2]
	v_or_b32_e32 v9, 0x7f, v16
	s_delay_alu instid0(VALU_DEP_1)
	v_cndmask_b32_e32 v10, v9, v10, vcc_lo
; %bb.61:                               ;   in Loop: Header=BB22_29 Depth=1
	s_or_b32 exec_lo, exec_lo, s0
	v_alignbit_b32 v1, v8, v7, 16
	v_alignbit_b32 v5, v6, v5, 16
	v_dual_mov_b32 v15, v2 :: v_dual_add_nc_u32 v16, 1, v12
	s_delay_alu instid0(VALU_DEP_3) | instskip(NEXT) | instid1(VALU_DEP_3)
	v_and_b32_e32 v1, 0xffff0000, v1
	v_and_b32_e32 v5, 0xffff0000, v5
	global_store_b8 v16, v10, s[2:3]
	v_mul_f32_e32 v1, v11, v1
	s_delay_alu instid0(VALU_DEP_1) | instskip(SKIP_1) | instid1(VALU_DEP_2)
	v_bfe_u32 v7, v1, 16, 1
	v_cmp_o_f32_e32 vcc_lo, v1, v1
	v_add3_u32 v7, v1, v7, 0x7fff
	s_delay_alu instid0(VALU_DEP_1) | instskip(NEXT) | instid1(VALU_DEP_1)
	v_and_b32_e32 v7, 0xffff0000, v7
	v_cndmask_b32_e32 v1, 0x7fc00000, v7, vcc_lo
	s_delay_alu instid0(VALU_DEP_1) | instskip(NEXT) | instid1(VALU_DEP_1)
	v_mul_f32_e32 v1, v1, v5
	v_bfe_u32 v5, v1, 16, 1
	v_cmp_o_f32_e32 vcc_lo, v1, v1
	s_delay_alu instid0(VALU_DEP_2) | instskip(NEXT) | instid1(VALU_DEP_1)
	v_add3_u32 v5, v1, v5, 0x7fff
	v_and_b32_e32 v5, 0xffff0000, v5
	s_delay_alu instid0(VALU_DEP_1) | instskip(NEXT) | instid1(VALU_DEP_1)
	v_cndmask_b32_e32 v1, 0x7fc00000, v5, vcc_lo
	v_mul_f32_e32 v1, v13, v1
	s_delay_alu instid0(VALU_DEP_1) | instskip(NEXT) | instid1(VALU_DEP_1)
	v_minmax_f32 v7, v1, s13, 0xc3e00000
	v_lshrrev_b32_e32 v9, 24, v7
	v_and_b32_e32 v14, 0x7f800000, v7
	v_and_b32_e32 v1, 0x7fffff, v7
	s_delay_alu instid0(VALU_DEP_3) | instskip(NEXT) | instid1(VALU_DEP_3)
	v_and_b32_e32 v5, 0x80, v9
	v_cmp_ne_u64_e32 vcc_lo, 0x7f800000, v[14:15]
	s_delay_alu instid0(VALU_DEP_2) | instskip(SKIP_1) | instid1(SALU_CYCLE_1)
	v_or_b32_e32 v14, 0x7e, v5
	s_and_saveexec_b32 s0, vcc_lo
	s_xor_b32 s14, exec_lo, s0
	s_cbranch_execz .LBB22_75
; %bb.62:                               ;   in Loop: Header=BB22_29 Depth=1
	v_dual_mov_b32 v10, v2 :: v_dual_and_b32 v9, 0x7fffffff, v7
	s_mov_b32 s0, exec_lo
	s_delay_alu instid0(VALU_DEP_1)
	v_cmpx_gt_u64_e32 0x43e00001, v[9:10]
	s_xor_b32 s15, exec_lo, s0
	s_cbranch_execz .LBB22_74
; %bb.63:                               ;   in Loop: Header=BB22_29 Depth=1
	v_mov_b32_e32 v14, 0
	s_mov_b32 s16, exec_lo
	v_cmpx_ne_u32_e32 0, v7
	s_cbranch_execz .LBB22_73
; %bb.64:                               ;   in Loop: Header=BB22_29 Depth=1
	v_bfe_u32 v7, v7, 23, 8
	s_delay_alu instid0(VALU_DEP_1) | instskip(SKIP_2) | instid1(VALU_DEP_3)
	v_sub_nc_u32_e64 v9, 0x79, v7 clamp
	v_cmp_eq_u32_e32 vcc_lo, 0, v7
	v_add_nc_u32_e32 v7, 0xffffff88, v7
	v_cndmask_b32_e64 v14, v9, 0x78, vcc_lo
	v_or_b32_e32 v9, 0x800000, v1
	s_delay_alu instid0(VALU_DEP_1) | instskip(SKIP_1) | instid1(VALU_DEP_2)
	v_dual_cndmask_b32 v1, v9, v1 :: v_dual_add_nc_u32 v10, 20, v14
	v_add_nc_u32_e32 v17, 19, v14
	v_lshlrev_b64 v[9:10], v10, -1
	s_delay_alu instid0(VALU_DEP_3) | instskip(NEXT) | instid1(VALU_DEP_2)
	v_lshrrev_b64 v[15:16], v14, v[1:2]
	v_not_b32_e32 v18, v10
	s_delay_alu instid0(VALU_DEP_3) | instskip(SKIP_1) | instid1(VALU_DEP_3)
	v_not_b32_e32 v19, v9
	v_lshlrev_b64 v[9:10], v17, 1
	v_and_b32_e32 v18, 0, v18
	s_delay_alu instid0(VALU_DEP_3) | instskip(SKIP_1) | instid1(VALU_DEP_2)
	v_and_b32_e32 v17, v1, v19
	v_and_b32_e32 v1, 0x100000, v15
	v_cmp_eq_u64_e64 s0, v[17:18], v[9:10]
	s_delay_alu instid0(VALU_DEP_2) | instskip(SKIP_2) | instid1(VALU_DEP_3)
	v_cmp_eq_u64_e64 s1, 0, v[1:2]
	v_cndmask_b32_e64 v1, v7, 0xffffff89, vcc_lo
	v_lshrrev_b32_e32 v7, 23, v15
	s_and_b32 vcc_lo, s1, s0
	s_delay_alu instid0(VALU_DEP_1) | instskip(SKIP_2) | instid1(VALU_DEP_2)
	v_add3_u32 v7, v1, v14, v7
	v_subrev_co_ci_u32_e32 v9, vcc_lo, 0, v15, vcc_lo
	s_mov_b32 s0, exec_lo
	v_add_nc_u32_e32 v14, -1, v7
	s_delay_alu instid0(VALU_DEP_2) | instskip(NEXT) | instid1(VALU_DEP_1)
	v_and_b32_e32 v1, 0xfffff, v9
	v_add_co_u32 v9, vcc_lo, v1, v15
	v_add_co_ci_u32_e32 v10, vcc_lo, 0, v16, vcc_lo
                                        ; implicit-def: $vgpr1
	s_delay_alu instid0(VALU_DEP_4)
	v_cmpx_ne_u32_e32 0, v14
	s_xor_b32 s0, exec_lo, s0
; %bb.65:                               ;   in Loop: Header=BB22_29 Depth=1
	s_delay_alu instid0(VALU_DEP_3) | instskip(SKIP_1) | instid1(VALU_DEP_2)
	v_and_b32_e32 v1, 0x1000000, v9
	v_bfe_u32 v15, v9, 24, 1
	v_cmp_eq_u64_e32 vcc_lo, 0, v[1:2]
	s_delay_alu instid0(VALU_DEP_2)
	v_lshrrev_b64 v[9:10], v15, v[9:10]
	v_cndmask_b32_e32 v1, v7, v14, vcc_lo
; %bb.66:                               ;   in Loop: Header=BB22_29 Depth=1
	s_and_not1_saveexec_b32 s0, s0
; %bb.67:                               ;   in Loop: Header=BB22_29 Depth=1
	s_delay_alu instid0(VALU_DEP_2)
	v_bfe_u32 v1, v9, 23, 1
; %bb.68:                               ;   in Loop: Header=BB22_29 Depth=1
	s_or_b32 exec_lo, exec_lo, s0
	s_delay_alu instid0(VALU_DEP_3) | instskip(NEXT) | instid1(VALU_DEP_2)
	v_lshrrev_b64 v[9:10], 20, v[9:10]
	v_cmp_gt_i32_e32 vcc_lo, 16, v1
	v_cmp_ne_u32_e64 s0, 0, v1
                                        ; implicit-def: $vgpr14
	s_delay_alu instid0(VALU_DEP_3) | instskip(NEXT) | instid1(VALU_DEP_1)
	v_dual_cndmask_b32 v10, 0, v10 :: v_dual_cndmask_b32 v9, 7, v9
	v_cmp_ne_u64_e32 vcc_lo, 0, v[9:10]
	s_delay_alu instid0(VALU_DEP_3) | instskip(NEXT) | instid1(SALU_CYCLE_1)
	s_or_b32 s0, s0, vcc_lo
	s_and_saveexec_b32 s1, s0
	s_delay_alu instid0(SALU_CYCLE_1)
	s_xor_b32 s0, exec_lo, s1
; %bb.69:                               ;   in Loop: Header=BB22_29 Depth=1
	v_min_i32_e32 v1, 15, v1
	s_delay_alu instid0(VALU_DEP_1) | instskip(NEXT) | instid1(VALU_DEP_1)
	v_lshl_or_b32 v1, v1, 3, v5
                                        ; implicit-def: $vgpr5
	v_and_or_b32 v14, v9, 7, v1
; %bb.70:                               ;   in Loop: Header=BB22_29 Depth=1
	s_and_not1_saveexec_b32 s0, s0
; %bb.71:                               ;   in Loop: Header=BB22_29 Depth=1
	v_mov_b32_e32 v14, v5
; %bb.72:                               ;   in Loop: Header=BB22_29 Depth=1
	s_or_b32 exec_lo, exec_lo, s0
.LBB22_73:                              ;   in Loop: Header=BB22_29 Depth=1
	s_delay_alu instid0(SALU_CYCLE_1)
	s_or_b32 exec_lo, exec_lo, s16
.LBB22_74:                              ;   in Loop: Header=BB22_29 Depth=1
	s_and_not1_saveexec_b32 s0, s15
	s_delay_alu instid0(SALU_CYCLE_1)
	s_or_b32 exec_lo, exec_lo, s0
                                        ; implicit-def: $vgpr9
.LBB22_75:                              ;   in Loop: Header=BB22_29 Depth=1
	s_and_not1_saveexec_b32 s0, s14
; %bb.76:                               ;   in Loop: Header=BB22_29 Depth=1
	v_cmp_eq_u64_e32 vcc_lo, 0, v[1:2]
	v_or_b32_e32 v5, 0x7f, v9
	s_delay_alu instid0(VALU_DEP_1)
	v_cndmask_b32_e32 v14, v5, v14, vcc_lo
; %bb.77:                               ;   in Loop: Header=BB22_29 Depth=1
	s_or_b32 exec_lo, exec_lo, s0
	v_dual_mov_b32 v10, v2 :: v_dual_and_b32 v1, 0xffff0000, v8
	v_add_nc_u32_e32 v15, 2, v12
	s_mov_b32 s0, exec_lo
	s_delay_alu instid0(VALU_DEP_2) | instskip(SKIP_3) | instid1(VALU_DEP_2)
	v_mul_f32_e32 v1, v11, v1
	global_store_b8 v15, v14, s[2:3]
	v_bfe_u32 v5, v1, 16, 1
	v_cmp_o_f32_e32 vcc_lo, v1, v1
	v_add3_u32 v5, v1, v5, 0x7fff
	s_delay_alu instid0(VALU_DEP_1) | instskip(NEXT) | instid1(VALU_DEP_1)
	v_and_b32_e32 v5, 0xffff0000, v5
	v_cndmask_b32_e32 v1, 0x7fc00000, v5, vcc_lo
	v_and_b32_e32 v5, 0xffff0000, v6
	s_delay_alu instid0(VALU_DEP_1) | instskip(NEXT) | instid1(VALU_DEP_1)
	v_mul_f32_e32 v1, v1, v5
	v_bfe_u32 v5, v1, 16, 1
	v_cmp_o_f32_e32 vcc_lo, v1, v1
	s_delay_alu instid0(VALU_DEP_2) | instskip(NEXT) | instid1(VALU_DEP_1)
	v_add3_u32 v5, v1, v5, 0x7fff
	v_and_b32_e32 v5, 0xffff0000, v5
	s_delay_alu instid0(VALU_DEP_1) | instskip(NEXT) | instid1(VALU_DEP_1)
	v_cndmask_b32_e32 v1, 0x7fc00000, v5, vcc_lo
	v_mul_f32_e32 v1, v13, v1
	s_delay_alu instid0(VALU_DEP_1) | instskip(NEXT) | instid1(VALU_DEP_1)
	v_minmax_f32 v5, v1, s13, 0xc3e00000
	v_lshrrev_b32_e32 v8, 24, v5
	v_and_b32_e32 v9, 0x7f800000, v5
	v_and_b32_e32 v1, 0x7fffff, v5
	s_delay_alu instid0(VALU_DEP_3) | instskip(NEXT) | instid1(VALU_DEP_1)
	v_and_b32_e32 v7, 0x80, v8
	v_or_b32_e32 v6, 0x7e, v7
	s_delay_alu instid0(VALU_DEP_4)
	v_cmpx_ne_u64_e32 0x7f800000, v[9:10]
	s_xor_b32 s14, exec_lo, s0
	s_cbranch_execz .LBB22_91
; %bb.78:                               ;   in Loop: Header=BB22_29 Depth=1
	v_dual_mov_b32 v9, v2 :: v_dual_and_b32 v8, 0x7fffffff, v5
	s_mov_b32 s0, exec_lo
	s_delay_alu instid0(VALU_DEP_1)
	v_cmpx_gt_u64_e32 0x43e00001, v[8:9]
	s_xor_b32 s15, exec_lo, s0
	s_cbranch_execz .LBB22_90
; %bb.79:                               ;   in Loop: Header=BB22_29 Depth=1
	v_mov_b32_e32 v6, 0
	s_mov_b32 s16, exec_lo
	v_cmpx_ne_u32_e32 0, v5
	s_cbranch_execz .LBB22_89
; %bb.80:                               ;   in Loop: Header=BB22_29 Depth=1
	v_bfe_u32 v10, v5, 23, 8
	s_delay_alu instid0(VALU_DEP_1) | instskip(SKIP_2) | instid1(VALU_DEP_3)
	v_sub_nc_u32_e64 v5, 0x79, v10 clamp
	v_cmp_eq_u32_e32 vcc_lo, 0, v10
	v_add_nc_u32_e32 v10, 0xffffff88, v10
	v_cndmask_b32_e64 v16, v5, 0x78, vcc_lo
	v_or_b32_e32 v5, 0x800000, v1
	s_delay_alu instid0(VALU_DEP_1) | instskip(SKIP_1) | instid1(VALU_DEP_2)
	v_dual_cndmask_b32 v1, v5, v1 :: v_dual_add_nc_u32 v6, 20, v16
	v_add_nc_u32_e32 v8, 19, v16
	v_lshlrev_b64 v[5:6], v6, -1
	s_delay_alu instid0(VALU_DEP_3) | instskip(NEXT) | instid1(VALU_DEP_2)
	v_lshrrev_b64 v[14:15], v16, v[1:2]
	v_not_b32_e32 v9, v6
	s_delay_alu instid0(VALU_DEP_3) | instskip(SKIP_1) | instid1(VALU_DEP_3)
	v_not_b32_e32 v17, v5
	v_lshlrev_b64 v[5:6], v8, 1
	v_and_b32_e32 v9, 0, v9
	s_delay_alu instid0(VALU_DEP_3) | instskip(SKIP_1) | instid1(VALU_DEP_2)
	v_and_b32_e32 v8, v1, v17
	v_and_b32_e32 v1, 0x100000, v14
	v_cmp_eq_u64_e64 s0, v[8:9], v[5:6]
	s_delay_alu instid0(VALU_DEP_2) | instskip(SKIP_2) | instid1(VALU_DEP_3)
	v_cmp_eq_u64_e64 s1, 0, v[1:2]
	v_cndmask_b32_e64 v1, v10, 0xffffff89, vcc_lo
	v_lshrrev_b32_e32 v5, 23, v14
	s_and_b32 vcc_lo, s1, s0
	s_delay_alu instid0(VALU_DEP_1) | instskip(SKIP_2) | instid1(VALU_DEP_2)
	v_add3_u32 v8, v1, v16, v5
	v_subrev_co_ci_u32_e32 v6, vcc_lo, 0, v14, vcc_lo
	s_mov_b32 s0, exec_lo
	v_add_nc_u32_e32 v9, -1, v8
	s_delay_alu instid0(VALU_DEP_2) | instskip(NEXT) | instid1(VALU_DEP_1)
	v_and_b32_e32 v1, 0xfffff, v6
	v_add_co_u32 v5, vcc_lo, v1, v14
	v_add_co_ci_u32_e32 v6, vcc_lo, 0, v15, vcc_lo
                                        ; implicit-def: $vgpr1
	s_delay_alu instid0(VALU_DEP_4)
	v_cmpx_ne_u32_e32 0, v9
	s_xor_b32 s0, exec_lo, s0
; %bb.81:                               ;   in Loop: Header=BB22_29 Depth=1
	s_delay_alu instid0(VALU_DEP_3) | instskip(SKIP_1) | instid1(VALU_DEP_2)
	v_and_b32_e32 v1, 0x1000000, v5
	v_bfe_u32 v10, v5, 24, 1
	v_cmp_eq_u64_e32 vcc_lo, 0, v[1:2]
	s_delay_alu instid0(VALU_DEP_2)
	v_lshrrev_b64 v[5:6], v10, v[5:6]
	v_cndmask_b32_e32 v1, v8, v9, vcc_lo
; %bb.82:                               ;   in Loop: Header=BB22_29 Depth=1
	s_and_not1_saveexec_b32 s0, s0
; %bb.83:                               ;   in Loop: Header=BB22_29 Depth=1
	s_delay_alu instid0(VALU_DEP_2)
	v_bfe_u32 v1, v5, 23, 1
; %bb.84:                               ;   in Loop: Header=BB22_29 Depth=1
	s_or_b32 exec_lo, exec_lo, s0
	s_delay_alu instid0(VALU_DEP_3) | instskip(NEXT) | instid1(VALU_DEP_2)
	v_lshrrev_b64 v[5:6], 20, v[5:6]
	v_cmp_gt_i32_e32 vcc_lo, 16, v1
	v_cmp_ne_u32_e64 s0, 0, v1
	s_delay_alu instid0(VALU_DEP_3) | instskip(NEXT) | instid1(VALU_DEP_1)
	v_dual_cndmask_b32 v6, 0, v6 :: v_dual_cndmask_b32 v5, 7, v5
	v_cmp_ne_u64_e32 vcc_lo, 0, v[5:6]
                                        ; implicit-def: $vgpr6
	s_delay_alu instid0(VALU_DEP_3) | instskip(NEXT) | instid1(SALU_CYCLE_1)
	s_or_b32 s0, s0, vcc_lo
	s_and_saveexec_b32 s1, s0
	s_delay_alu instid0(SALU_CYCLE_1)
	s_xor_b32 s0, exec_lo, s1
; %bb.85:                               ;   in Loop: Header=BB22_29 Depth=1
	v_min_i32_e32 v1, 15, v1
	s_delay_alu instid0(VALU_DEP_1) | instskip(NEXT) | instid1(VALU_DEP_1)
	v_lshl_or_b32 v1, v1, 3, v7
                                        ; implicit-def: $vgpr7
	v_and_or_b32 v6, v5, 7, v1
; %bb.86:                               ;   in Loop: Header=BB22_29 Depth=1
	s_and_not1_saveexec_b32 s0, s0
; %bb.87:                               ;   in Loop: Header=BB22_29 Depth=1
	v_mov_b32_e32 v6, v7
; %bb.88:                               ;   in Loop: Header=BB22_29 Depth=1
	s_or_b32 exec_lo, exec_lo, s0
.LBB22_89:                              ;   in Loop: Header=BB22_29 Depth=1
	s_delay_alu instid0(SALU_CYCLE_1)
	s_or_b32 exec_lo, exec_lo, s16
.LBB22_90:                              ;   in Loop: Header=BB22_29 Depth=1
	s_and_not1_saveexec_b32 s0, s15
	s_delay_alu instid0(SALU_CYCLE_1)
	s_or_b32 exec_lo, exec_lo, s0
                                        ; implicit-def: $vgpr8
.LBB22_91:                              ;   in Loop: Header=BB22_29 Depth=1
	s_and_not1_saveexec_b32 s0, s14
	s_cbranch_execz .LBB22_28
; %bb.92:                               ;   in Loop: Header=BB22_29 Depth=1
	v_cmp_eq_u64_e32 vcc_lo, 0, v[1:2]
	v_or_b32_e32 v5, 0x7f, v8
	s_delay_alu instid0(VALU_DEP_1)
	v_cndmask_b32_e32 v6, v5, v6, vcc_lo
	s_branch .LBB22_28
.LBB22_93:
	s_nop 0
	s_sendmsg sendmsg(MSG_DEALLOC_VGPRS)
	s_endpgm
	.section	.rodata,"a",@progbits
	.p2align	6, 0x0
	.amdhsa_kernel _ZN4vllm32rms_norm_static_fp8_quant_kernelIN3c108BFloat16ENS1_13Float8_e4m3fnELi4EEEvPT0_PKT_iS8_PKffii
		.amdhsa_group_segment_fixed_size 132
		.amdhsa_private_segment_fixed_size 0
		.amdhsa_kernarg_size 312
		.amdhsa_user_sgpr_count 15
		.amdhsa_user_sgpr_dispatch_ptr 0
		.amdhsa_user_sgpr_queue_ptr 0
		.amdhsa_user_sgpr_kernarg_segment_ptr 1
		.amdhsa_user_sgpr_dispatch_id 0
		.amdhsa_user_sgpr_private_segment_size 0
		.amdhsa_wavefront_size32 1
		.amdhsa_uses_dynamic_stack 0
		.amdhsa_enable_private_segment 0
		.amdhsa_system_sgpr_workgroup_id_x 1
		.amdhsa_system_sgpr_workgroup_id_y 0
		.amdhsa_system_sgpr_workgroup_id_z 0
		.amdhsa_system_sgpr_workgroup_info 0
		.amdhsa_system_vgpr_workitem_id 0
		.amdhsa_next_free_vgpr 22
		.amdhsa_next_free_sgpr 20
		.amdhsa_reserve_vcc 1
		.amdhsa_float_round_mode_32 0
		.amdhsa_float_round_mode_16_64 0
		.amdhsa_float_denorm_mode_32 3
		.amdhsa_float_denorm_mode_16_64 3
		.amdhsa_dx10_clamp 1
		.amdhsa_ieee_mode 1
		.amdhsa_fp16_overflow 0
		.amdhsa_workgroup_processor_mode 1
		.amdhsa_memory_ordered 1
		.amdhsa_forward_progress 0
		.amdhsa_shared_vgpr_count 0
		.amdhsa_exception_fp_ieee_invalid_op 0
		.amdhsa_exception_fp_denorm_src 0
		.amdhsa_exception_fp_ieee_div_zero 0
		.amdhsa_exception_fp_ieee_overflow 0
		.amdhsa_exception_fp_ieee_underflow 0
		.amdhsa_exception_fp_ieee_inexact 0
		.amdhsa_exception_int_div_zero 0
	.end_amdhsa_kernel
	.section	.text._ZN4vllm32rms_norm_static_fp8_quant_kernelIN3c108BFloat16ENS1_13Float8_e4m3fnELi4EEEvPT0_PKT_iS8_PKffii,"axG",@progbits,_ZN4vllm32rms_norm_static_fp8_quant_kernelIN3c108BFloat16ENS1_13Float8_e4m3fnELi4EEEvPT0_PKT_iS8_PKffii,comdat
.Lfunc_end22:
	.size	_ZN4vllm32rms_norm_static_fp8_quant_kernelIN3c108BFloat16ENS1_13Float8_e4m3fnELi4EEEvPT0_PKT_iS8_PKffii, .Lfunc_end22-_ZN4vllm32rms_norm_static_fp8_quant_kernelIN3c108BFloat16ENS1_13Float8_e4m3fnELi4EEEvPT0_PKT_iS8_PKffii
                                        ; -- End function
	.section	.AMDGPU.csdata,"",@progbits
; Kernel info:
; codeLenInByte = 4836
; NumSgprs: 22
; NumVgprs: 22
; ScratchSize: 0
; MemoryBound: 0
; FloatMode: 240
; IeeeMode: 1
; LDSByteSize: 132 bytes/workgroup (compile time only)
; SGPRBlocks: 2
; VGPRBlocks: 2
; NumSGPRsForWavesPerEU: 22
; NumVGPRsForWavesPerEU: 22
; Occupancy: 16
; WaveLimiterHint : 0
; COMPUTE_PGM_RSRC2:SCRATCH_EN: 0
; COMPUTE_PGM_RSRC2:USER_SGPR: 15
; COMPUTE_PGM_RSRC2:TRAP_HANDLER: 0
; COMPUTE_PGM_RSRC2:TGID_X_EN: 1
; COMPUTE_PGM_RSRC2:TGID_Y_EN: 0
; COMPUTE_PGM_RSRC2:TGID_Z_EN: 0
; COMPUTE_PGM_RSRC2:TIDIG_COMP_CNT: 0
	.section	.text._ZN4vllm32rms_norm_static_fp8_quant_kernelIN3c108BFloat16ENS1_13Float8_e4m3fnELi2EEEvPT0_PKT_iS8_PKffii,"axG",@progbits,_ZN4vllm32rms_norm_static_fp8_quant_kernelIN3c108BFloat16ENS1_13Float8_e4m3fnELi2EEEvPT0_PKT_iS8_PKffii,comdat
	.protected	_ZN4vllm32rms_norm_static_fp8_quant_kernelIN3c108BFloat16ENS1_13Float8_e4m3fnELi2EEEvPT0_PKT_iS8_PKffii ; -- Begin function _ZN4vllm32rms_norm_static_fp8_quant_kernelIN3c108BFloat16ENS1_13Float8_e4m3fnELi2EEEvPT0_PKT_iS8_PKffii
	.globl	_ZN4vllm32rms_norm_static_fp8_quant_kernelIN3c108BFloat16ENS1_13Float8_e4m3fnELi2EEEvPT0_PKT_iS8_PKffii
	.p2align	8
	.type	_ZN4vllm32rms_norm_static_fp8_quant_kernelIN3c108BFloat16ENS1_13Float8_e4m3fnELi2EEEvPT0_PKT_iS8_PKffii,@function
_ZN4vllm32rms_norm_static_fp8_quant_kernelIN3c108BFloat16ENS1_13Float8_e4m3fnELi2EEEvPT0_PKT_iS8_PKffii: ; @_ZN4vllm32rms_norm_static_fp8_quant_kernelIN3c108BFloat16ENS1_13Float8_e4m3fnELi2EEEvPT0_PKT_iS8_PKffii
; %bb.0:
	s_clause 0x3
	s_load_b32 s2, s[0:1], 0x10
	s_load_b64 s[4:5], s[0:1], 0x8
	s_load_b32 s10, s[0:1], 0x44
	s_load_b32 s13, s[0:1], 0x30
	s_mov_b32 s3, 0
	s_waitcnt lgkmcnt(0)
	s_mul_i32 s2, s15, s2
	s_delay_alu instid0(SALU_CYCLE_1) | instskip(NEXT) | instid1(SALU_CYCLE_1)
	s_lshl_b64 s[6:7], s[2:3], 1
	s_add_u32 s8, s4, s6
	s_addc_u32 s9, s5, s7
	s_and_b32 s2, s8, 3
	s_and_b32 s12, s10, 0xffff
	s_cmp_lg_u64 s[2:3], 0
	s_cselect_b32 s2, -1, 0
	s_bitcmp1_b32 s13, 0
	s_cselect_b32 s3, -1, 0
	s_delay_alu instid0(SALU_CYCLE_1) | instskip(NEXT) | instid1(SALU_CYCLE_1)
	s_or_b32 s2, s2, s3
	s_and_b32 vcc_lo, exec_lo, s2
	s_cbranch_vccz .LBB23_13
; %bb.1:
	s_sub_i32 s2, 0, s8
	v_mov_b32_e32 v4, 0
	s_bfe_u32 s2, s2, 0x10001
	s_mov_b32 s11, exec_lo
	s_min_i32 s10, s2, s13
	s_delay_alu instid0(SALU_CYCLE_1)
	v_cmpx_gt_i32_e64 s10, v0
	s_cbranch_execz .LBB23_4
; %bb.2:
	v_dual_mov_b32 v1, 0 :: v_dual_mov_b32 v4, 0
	s_lshl_b32 s14, s12, 1
	s_mov_b32 s16, 0
	s_mov_b64 s[2:3], s[8:9]
.LBB23_3:                               ; =>This Inner Loop Header: Depth=1
	global_load_u16 v2, v1, s[2:3]
	s_add_i32 s16, s16, s12
	s_add_u32 s2, s2, s14
	s_addc_u32 s3, s3, 0
	s_cmp_ge_i32 s16, s10
	s_waitcnt vmcnt(0)
	v_lshlrev_b32_e32 v2, 16, v2
	s_delay_alu instid0(VALU_DEP_1)
	v_fmac_f32_e32 v4, v2, v2
	s_cbranch_scc0 .LBB23_3
.LBB23_4:
	s_or_b32 exec_lo, exec_lo, s11
	s_sub_i32 s3, s13, s10
	s_ashr_i32 s11, s10, 31
	s_lshr_b32 s2, s3, 31
	s_mov_b32 s16, exec_lo
	s_add_i32 s2, s3, s2
	s_delay_alu instid0(SALU_CYCLE_1) | instskip(NEXT) | instid1(SALU_CYCLE_1)
	s_ashr_i32 s14, s2, 1
	v_cmpx_gt_i32_e64 s14, v0
	s_cbranch_execz .LBB23_8
; %bb.5:
	v_lshlrev_b32_e32 v1, 2, v0
	s_lshl_b64 s[18:19], s[10:11], 1
	s_add_u32 s2, s4, s6
	s_addc_u32 s17, s5, s7
	s_add_u32 s2, s2, s18
	s_addc_u32 s17, s17, s19
	v_add_co_u32 v1, s2, s2, v1
	s_delay_alu instid0(VALU_DEP_1)
	v_add_co_ci_u32_e64 v2, null, s17, 0, s2
	v_mov_b32_e32 v3, v0
	s_mov_b32 s17, 0
	s_lshl_b32 s18, s12, 2
.LBB23_6:                               ; =>This Inner Loop Header: Depth=1
	global_load_b32 v5, v[1:2], off
	v_add_co_u32 v1, vcc_lo, v1, s18
	v_add_co_ci_u32_e32 v2, vcc_lo, 0, v2, vcc_lo
	s_waitcnt vmcnt(0)
	v_lshlrev_b32_e32 v6, 16, v5
	v_add_nc_u32_e32 v3, s12, v3
	s_delay_alu instid0(VALU_DEP_2) | instskip(NEXT) | instid1(VALU_DEP_2)
	v_dual_fmac_f32 v4, v6, v6 :: v_dual_and_b32 v5, 0xffff0000, v5
	v_cmp_le_i32_e64 s2, s14, v3
	s_delay_alu instid0(VALU_DEP_2) | instskip(NEXT) | instid1(VALU_DEP_2)
	v_fmac_f32_e32 v4, v5, v5
	s_or_b32 s17, s2, s17
	s_delay_alu instid0(SALU_CYCLE_1)
	s_and_not1_b32 exec_lo, exec_lo, s17
	s_cbranch_execnz .LBB23_6
; %bb.7:
	s_or_b32 exec_lo, exec_lo, s17
.LBB23_8:
	s_delay_alu instid0(SALU_CYCLE_1) | instskip(SKIP_2) | instid1(VALU_DEP_1)
	s_or_b32 exec_lo, exec_lo, s16
	v_lshl_add_u32 v1, s14, 1, v0
	s_mov_b32 s14, exec_lo
	v_cmpx_gt_i32_e64 s3, v1
	s_cbranch_execz .LBB23_12
; %bb.9:
	v_ashrrev_i32_e32 v2, 31, v1
	s_lshl_b64 s[10:11], s[10:11], 1
	s_add_u32 s2, s4, s6
	s_addc_u32 s16, s5, s7
	s_add_u32 s2, s2, s10
	v_lshlrev_b64 v[2:3], 1, v[1:2]
	s_addc_u32 s10, s16, s11
	s_lshl_b32 s11, s12, 1
	s_delay_alu instid0(VALU_DEP_1) | instskip(NEXT) | instid1(VALU_DEP_2)
	v_add_co_u32 v2, vcc_lo, s2, v2
	v_add_co_ci_u32_e32 v3, vcc_lo, s10, v3, vcc_lo
	s_mov_b32 s10, 0
.LBB23_10:                              ; =>This Inner Loop Header: Depth=1
	global_load_u16 v5, v[2:3], off
	v_add_nc_u32_e32 v1, s12, v1
	v_add_co_u32 v2, vcc_lo, v2, s11
	v_add_co_ci_u32_e32 v3, vcc_lo, 0, v3, vcc_lo
	s_delay_alu instid0(VALU_DEP_3) | instskip(NEXT) | instid1(VALU_DEP_1)
	v_cmp_le_i32_e64 s2, s3, v1
	s_or_b32 s10, s2, s10
	s_waitcnt vmcnt(0)
	v_lshlrev_b32_e32 v5, 16, v5
	s_delay_alu instid0(VALU_DEP_1)
	v_fmac_f32_e32 v4, v5, v5
	s_and_not1_b32 exec_lo, exec_lo, s10
	s_cbranch_execnz .LBB23_10
; %bb.11:
	s_or_b32 exec_lo, exec_lo, s10
.LBB23_12:
	s_delay_alu instid0(SALU_CYCLE_1)
	s_or_b32 exec_lo, exec_lo, s14
	s_branch .LBB23_19
.LBB23_13:
                                        ; implicit-def: $vgpr4
	s_cbranch_execz .LBB23_19
; %bb.14:
	v_mov_b32_e32 v4, 0
	s_ashr_i32 s10, s13, 1
	s_mov_b32 s3, exec_lo
	v_cmpx_gt_i32_e64 s10, v0
	s_cbranch_execz .LBB23_18
; %bb.15:
	v_dual_mov_b32 v4, 0 :: v_dual_lshlrev_b32 v1, 2, v0
	s_add_u32 s2, s4, s6
	s_addc_u32 s4, s5, s7
	v_mov_b32_e32 v3, v0
	s_delay_alu instid0(VALU_DEP_2) | instskip(NEXT) | instid1(VALU_DEP_1)
	v_add_co_u32 v1, s2, s2, v1
	v_add_co_ci_u32_e64 v2, null, s4, 0, s2
	s_mov_b32 s4, 0
	s_lshl_b32 s5, s12, 2
.LBB23_16:                              ; =>This Inner Loop Header: Depth=1
	global_load_b32 v5, v[1:2], off
	v_add_co_u32 v1, vcc_lo, v1, s5
	v_add_co_ci_u32_e32 v2, vcc_lo, 0, v2, vcc_lo
	s_waitcnt vmcnt(0)
	v_lshlrev_b32_e32 v6, 16, v5
	v_add_nc_u32_e32 v3, s12, v3
	s_delay_alu instid0(VALU_DEP_2) | instskip(NEXT) | instid1(VALU_DEP_2)
	v_dual_fmac_f32 v4, v6, v6 :: v_dual_and_b32 v5, 0xffff0000, v5
	v_cmp_le_i32_e64 s2, s10, v3
	s_delay_alu instid0(VALU_DEP_2) | instskip(NEXT) | instid1(VALU_DEP_2)
	v_fmac_f32_e32 v4, v5, v5
	s_or_b32 s4, s2, s4
	s_delay_alu instid0(SALU_CYCLE_1)
	s_and_not1_b32 exec_lo, exec_lo, s4
	s_cbranch_execnz .LBB23_16
; %bb.17:
	s_or_b32 exec_lo, exec_lo, s4
.LBB23_18:
	s_delay_alu instid0(SALU_CYCLE_1)
	s_or_b32 exec_lo, exec_lo, s3
.LBB23_19:
	v_mbcnt_lo_u32_b32 v1, -1, 0
	v_and_b32_e32 v3, 0x3e0, v0
	s_mov_b32 s2, exec_lo
	s_delay_alu instid0(VALU_DEP_2) | instskip(NEXT) | instid1(VALU_DEP_2)
	v_cmp_ne_u32_e32 vcc_lo, 31, v1
	v_sub_nc_u32_e64 v12, s12, v3 clamp
	v_add_nc_u32_e32 v3, 1, v1
	v_add_co_ci_u32_e32 v2, vcc_lo, 0, v1, vcc_lo
	v_cmp_gt_u32_e32 vcc_lo, 30, v1
	s_delay_alu instid0(VALU_DEP_2)
	v_lshlrev_b32_e32 v2, 2, v2
	v_cndmask_b32_e64 v6, 0, 1, vcc_lo
	v_cmp_lt_u32_e32 vcc_lo, v3, v12
	ds_bpermute_b32 v5, v2, v4
	s_waitcnt lgkmcnt(0)
	v_dual_add_f32 v7, v4, v5 :: v_dual_lshlrev_b32 v6, 1, v6
	s_delay_alu instid0(VALU_DEP_1) | instskip(NEXT) | instid1(VALU_DEP_2)
	v_cndmask_b32_e32 v7, v4, v7, vcc_lo
	v_add_lshl_u32 v5, v6, v1, 2
	v_cmp_gt_u32_e32 vcc_lo, 28, v1
	ds_bpermute_b32 v6, v5, v7
	v_cndmask_b32_e64 v4, 0, 1, vcc_lo
	s_delay_alu instid0(VALU_DEP_1) | instskip(SKIP_1) | instid1(VALU_DEP_1)
	v_lshlrev_b32_e32 v8, 2, v4
	v_add_nc_u32_e32 v4, 2, v1
	v_cmp_lt_u32_e32 vcc_lo, v4, v12
	s_waitcnt lgkmcnt(0)
	v_add_f32_e32 v9, v7, v6
	v_add_lshl_u32 v6, v8, v1, 2
	s_delay_alu instid0(VALU_DEP_2) | instskip(SKIP_2) | instid1(VALU_DEP_1)
	v_cndmask_b32_e32 v9, v7, v9, vcc_lo
	v_cmp_gt_u32_e32 vcc_lo, 24, v1
	v_cndmask_b32_e64 v7, 0, 1, vcc_lo
	v_lshlrev_b32_e32 v10, 3, v7
	ds_bpermute_b32 v8, v6, v9
	v_add_nc_u32_e32 v7, 4, v1
	s_delay_alu instid0(VALU_DEP_1) | instskip(SKIP_3) | instid1(VALU_DEP_2)
	v_cmp_lt_u32_e32 vcc_lo, v7, v12
	s_waitcnt lgkmcnt(0)
	v_add_f32_e32 v11, v9, v8
	v_add_lshl_u32 v8, v10, v1, 2
	v_cndmask_b32_e32 v11, v9, v11, vcc_lo
	v_cmp_gt_u32_e32 vcc_lo, 16, v1
	ds_bpermute_b32 v10, v8, v11
	v_cndmask_b32_e64 v9, 0, 1, vcc_lo
	s_delay_alu instid0(VALU_DEP_1) | instskip(SKIP_1) | instid1(VALU_DEP_1)
	v_lshlrev_b32_e32 v13, 4, v9
	v_add_nc_u32_e32 v9, 8, v1
	v_cmp_lt_u32_e32 vcc_lo, v9, v12
	s_waitcnt lgkmcnt(0)
	v_add_f32_e32 v14, v11, v10
	v_add_lshl_u32 v10, v13, v1, 2
	s_delay_alu instid0(VALU_DEP_2)
	v_cndmask_b32_e32 v13, v11, v14, vcc_lo
	v_add_nc_u32_e32 v11, 16, v1
	ds_bpermute_b32 v14, v10, v13
	v_cmp_lt_u32_e32 vcc_lo, v11, v12
	s_waitcnt lgkmcnt(0)
	v_add_f32_e32 v14, v13, v14
	s_delay_alu instid0(VALU_DEP_1)
	v_cndmask_b32_e32 v12, v13, v14, vcc_lo
	v_cmpx_eq_u32_e32 0, v1
	s_cbranch_execz .LBB23_21
; %bb.20:
	v_lshrrev_b32_e32 v13, 3, v0
	s_delay_alu instid0(VALU_DEP_1)
	v_and_b32_e32 v13, 0x7c, v13
	ds_store_b32 v13, v12
.LBB23_21:
	s_or_b32 exec_lo, exec_lo, s2
	s_delay_alu instid0(SALU_CYCLE_1)
	s_mov_b32 s2, exec_lo
	s_waitcnt lgkmcnt(0)
	s_barrier
	buffer_gl0_inv
	v_cmpx_gt_u32_e32 32, v0
	s_cbranch_execz .LBB23_23
; %bb.22:
	v_lshlrev_b32_e32 v1, 2, v1
	s_add_i32 s3, s12, 31
	s_delay_alu instid0(SALU_CYCLE_1) | instskip(NEXT) | instid1(SALU_CYCLE_1)
	s_lshr_b32 s3, s3, 5
	v_cmp_gt_u32_e32 vcc_lo, s3, v3
	ds_load_b32 v1, v1
	s_waitcnt lgkmcnt(0)
	ds_bpermute_b32 v2, v2, v1
	s_waitcnt lgkmcnt(0)
	v_add_f32_e32 v2, v1, v2
	s_delay_alu instid0(VALU_DEP_1) | instskip(SKIP_4) | instid1(VALU_DEP_1)
	v_cndmask_b32_e32 v1, v1, v2, vcc_lo
	v_cmp_gt_u32_e32 vcc_lo, s3, v4
	ds_bpermute_b32 v2, v5, v1
	s_waitcnt lgkmcnt(0)
	v_add_f32_e32 v2, v1, v2
	v_cndmask_b32_e32 v1, v1, v2, vcc_lo
	v_cmp_gt_u32_e32 vcc_lo, s3, v7
	ds_bpermute_b32 v2, v6, v1
	s_waitcnt lgkmcnt(0)
	v_add_f32_e32 v2, v1, v2
	s_delay_alu instid0(VALU_DEP_1) | instskip(SKIP_4) | instid1(VALU_DEP_1)
	v_cndmask_b32_e32 v1, v1, v2, vcc_lo
	v_cmp_gt_u32_e32 vcc_lo, s3, v9
	ds_bpermute_b32 v2, v8, v1
	s_waitcnt lgkmcnt(0)
	v_add_f32_e32 v2, v1, v2
	v_cndmask_b32_e32 v1, v1, v2, vcc_lo
	v_cmp_gt_u32_e32 vcc_lo, s3, v11
	ds_bpermute_b32 v2, v10, v1
	s_waitcnt lgkmcnt(0)
	v_add_f32_e32 v2, v1, v2
	s_delay_alu instid0(VALU_DEP_1)
	v_cndmask_b32_e32 v12, v1, v2, vcc_lo
.LBB23_23:
	s_or_b32 exec_lo, exec_lo, s2
	s_delay_alu instid0(SALU_CYCLE_1)
	s_mov_b32 s2, exec_lo
	v_cmpx_eq_u32_e32 0, v0
	s_cbranch_execz .LBB23_25
; %bb.24:
	v_cvt_f32_i32_e32 v1, s13
	s_load_b32 s3, s[0:1], 0x28
	s_delay_alu instid0(VALU_DEP_1) | instskip(SKIP_1) | instid1(VALU_DEP_2)
	v_div_scale_f32 v2, null, v1, v1, v12
	v_div_scale_f32 v5, vcc_lo, v12, v1, v12
	v_rcp_f32_e32 v3, v2
	s_waitcnt_depctr 0xfff
	v_fma_f32 v4, -v2, v3, 1.0
	s_delay_alu instid0(VALU_DEP_1) | instskip(NEXT) | instid1(VALU_DEP_1)
	v_fmac_f32_e32 v3, v4, v3
	v_mul_f32_e32 v4, v5, v3
	s_delay_alu instid0(VALU_DEP_1) | instskip(NEXT) | instid1(VALU_DEP_1)
	v_fma_f32 v6, -v2, v4, v5
	v_fmac_f32_e32 v4, v6, v3
	s_delay_alu instid0(VALU_DEP_1) | instskip(NEXT) | instid1(VALU_DEP_1)
	v_fma_f32 v2, -v2, v4, v5
	v_div_fmas_f32 v2, v2, v3, v4
	s_delay_alu instid0(VALU_DEP_1) | instskip(SKIP_1) | instid1(VALU_DEP_1)
	v_div_fixup_f32 v1, v2, v1, v12
	s_waitcnt lgkmcnt(0)
	v_add_f32_e32 v1, s3, v1
	s_delay_alu instid0(VALU_DEP_1) | instskip(SKIP_1) | instid1(VALU_DEP_2)
	v_mul_f32_e32 v2, 0x4b800000, v1
	v_cmp_gt_f32_e32 vcc_lo, 0x800000, v1
	v_cndmask_b32_e32 v1, v1, v2, vcc_lo
	s_delay_alu instid0(VALU_DEP_1) | instskip(SKIP_2) | instid1(VALU_DEP_1)
	v_rsq_f32_e32 v1, v1
	s_waitcnt_depctr 0xfff
	v_mul_f32_e32 v2, 0x45800000, v1
	v_dual_cndmask_b32 v1, v1, v2 :: v_dual_mov_b32 v2, 0
	ds_store_b32 v2, v1 offset:128
.LBB23_25:
	s_or_b32 exec_lo, exec_lo, s2
	s_lshr_b32 s2, s13, 31
	s_waitcnt lgkmcnt(0)
	s_add_i32 s2, s13, s2
	s_barrier
	s_ashr_i32 s10, s2, 1
	buffer_gl0_inv
	s_mov_b32 s2, exec_lo
	v_cmpx_gt_i32_e64 s10, v0
	s_cbranch_execz .LBB23_60
; %bb.26:
	s_clause 0x1
	s_load_b128 s[4:7], s[0:1], 0x18
	s_load_b64 s[2:3], s[0:1], 0x0
	s_mul_i32 s15, s15, s13
	s_lshl_b32 s11, s12, 2
	v_lshl_add_u32 v8, v0, 1, s15
	s_mov_b32 s13, 0x43e00000
	s_waitcnt lgkmcnt(0)
	s_load_b32 s7, s[6:7], 0x0
	s_lshl_b32 s6, s12, 1
	s_waitcnt lgkmcnt(0)
	v_div_scale_f32 v1, null, s7, s7, 1.0
	v_div_scale_f32 v4, vcc_lo, 1.0, s7, 1.0
	s_delay_alu instid0(VALU_DEP_2) | instskip(SKIP_2) | instid1(VALU_DEP_1)
	v_rcp_f32_e32 v3, v1
	s_waitcnt_depctr 0xfff
	v_fma_f32 v2, -v1, v3, 1.0
	v_dual_fmac_f32 v3, v2, v3 :: v_dual_mov_b32 v2, 0
	s_delay_alu instid0(VALU_DEP_1) | instskip(SKIP_2) | instid1(VALU_DEP_1)
	v_mul_f32_e32 v5, v4, v3
	ds_load_b32 v7, v2 offset:128
	v_fma_f32 v6, -v1, v5, v4
	v_fmac_f32_e32 v5, v6, v3
	s_delay_alu instid0(VALU_DEP_1) | instskip(NEXT) | instid1(VALU_DEP_1)
	v_fma_f32 v1, -v1, v5, v4
	v_div_fmas_f32 v3, v1, v3, v5
	v_lshlrev_b32_e32 v1, 2, v0
	s_delay_alu instid0(VALU_DEP_2) | instskip(NEXT) | instid1(VALU_DEP_2)
	v_div_fixup_f32 v9, v3, s7, 1.0
	v_dual_mov_b32 v4, v2 :: v_dual_mov_b32 v3, v1
	s_mov_b32 s7, 0
	s_branch .LBB23_28
.LBB23_27:                              ;   in Loop: Header=BB23_28 Depth=1
	s_or_b32 exec_lo, exec_lo, s0
	v_add_nc_u32_e32 v0, s12, v0
	v_add_co_u32 v3, s0, v3, s11
	v_add_nc_u32_e32 v1, 1, v8
	v_add_nc_u32_e32 v8, s6, v8
	s_delay_alu instid0(VALU_DEP_4) | instskip(SKIP_3) | instid1(SALU_CYCLE_1)
	v_cmp_le_i32_e32 vcc_lo, s10, v0
	v_add_co_ci_u32_e64 v4, s0, 0, v4, s0
	global_store_b8 v1, v11, s[2:3]
	s_or_b32 s7, vcc_lo, s7
	s_and_not1_b32 exec_lo, exec_lo, s7
	s_cbranch_execz .LBB23_60
.LBB23_28:                              ; =>This Inner Loop Header: Depth=1
	s_delay_alu instid0(VALU_DEP_1) | instskip(NEXT) | instid1(VALU_DEP_2)
	v_add_co_u32 v5, vcc_lo, s8, v3
	v_add_co_ci_u32_e32 v6, vcc_lo, s9, v4, vcc_lo
	s_mov_b32 s0, exec_lo
	v_mov_b32_e32 v15, v2
	global_load_b32 v11, v[5:6], off
	v_add_co_u32 v5, vcc_lo, s4, v3
	v_add_co_ci_u32_e32 v6, vcc_lo, s5, v4, vcc_lo
	global_load_b32 v10, v[5:6], off
	s_waitcnt vmcnt(1)
	v_lshlrev_b32_e32 v1, 16, v11
	s_waitcnt lgkmcnt(0)
	s_delay_alu instid0(VALU_DEP_1) | instskip(NEXT) | instid1(VALU_DEP_1)
	v_mul_f32_e32 v1, v7, v1
	v_bfe_u32 v5, v1, 16, 1
	v_cmp_o_f32_e32 vcc_lo, v1, v1
	s_delay_alu instid0(VALU_DEP_2) | instskip(NEXT) | instid1(VALU_DEP_1)
	v_add3_u32 v5, v1, v5, 0x7fff
	v_and_b32_e32 v5, 0xffff0000, v5
	s_delay_alu instid0(VALU_DEP_1) | instskip(SKIP_2) | instid1(VALU_DEP_1)
	v_cndmask_b32_e32 v1, 0x7fc00000, v5, vcc_lo
	s_waitcnt vmcnt(0)
	v_lshlrev_b32_e32 v5, 16, v10
	v_mul_f32_e32 v1, v1, v5
	s_delay_alu instid0(VALU_DEP_1) | instskip(SKIP_1) | instid1(VALU_DEP_2)
	v_bfe_u32 v5, v1, 16, 1
	v_cmp_o_f32_e32 vcc_lo, v1, v1
	v_add3_u32 v5, v1, v5, 0x7fff
	s_delay_alu instid0(VALU_DEP_1) | instskip(NEXT) | instid1(VALU_DEP_1)
	v_and_b32_e32 v5, 0xffff0000, v5
	v_cndmask_b32_e32 v1, 0x7fc00000, v5, vcc_lo
	s_delay_alu instid0(VALU_DEP_1) | instskip(NEXT) | instid1(VALU_DEP_1)
	v_mul_f32_e32 v1, v9, v1
	v_minmax_f32 v5, v1, s13, 0xc3e00000
	s_delay_alu instid0(VALU_DEP_1) | instskip(SKIP_2) | instid1(VALU_DEP_3)
	v_lshrrev_b32_e32 v13, 24, v5
	v_and_b32_e32 v14, 0x7f800000, v5
	v_and_b32_e32 v1, 0x7fffff, v5
	v_and_b32_e32 v12, 0x80, v13
	s_delay_alu instid0(VALU_DEP_1) | instskip(NEXT) | instid1(VALU_DEP_4)
	v_or_b32_e32 v6, 0x7e, v12
	v_cmpx_ne_u64_e32 0x7f800000, v[14:15]
	s_xor_b32 s14, exec_lo, s0
	s_cbranch_execz .LBB23_42
; %bb.29:                               ;   in Loop: Header=BB23_28 Depth=1
	v_dual_mov_b32 v14, v2 :: v_dual_and_b32 v13, 0x7fffffff, v5
	s_mov_b32 s0, exec_lo
	s_delay_alu instid0(VALU_DEP_1)
	v_cmpx_gt_u64_e32 0x43e00001, v[13:14]
	s_xor_b32 s15, exec_lo, s0
	s_cbranch_execz .LBB23_41
; %bb.30:                               ;   in Loop: Header=BB23_28 Depth=1
	v_mov_b32_e32 v6, 0
	s_mov_b32 s16, exec_lo
	v_cmpx_ne_u32_e32 0, v5
	s_cbranch_execz .LBB23_40
; %bb.31:                               ;   in Loop: Header=BB23_28 Depth=1
	v_bfe_u32 v17, v5, 23, 8
	s_delay_alu instid0(VALU_DEP_1) | instskip(SKIP_2) | instid1(VALU_DEP_3)
	v_sub_nc_u32_e64 v5, 0x79, v17 clamp
	v_cmp_eq_u32_e32 vcc_lo, 0, v17
	v_add_nc_u32_e32 v17, 0xffffff88, v17
	v_cndmask_b32_e64 v18, v5, 0x78, vcc_lo
	v_or_b32_e32 v5, 0x800000, v1
	s_delay_alu instid0(VALU_DEP_1) | instskip(SKIP_1) | instid1(VALU_DEP_2)
	v_dual_cndmask_b32 v1, v5, v1 :: v_dual_add_nc_u32 v6, 20, v18
	v_add_nc_u32_e32 v13, 19, v18
	v_lshlrev_b64 v[5:6], v6, -1
	s_delay_alu instid0(VALU_DEP_3) | instskip(NEXT) | instid1(VALU_DEP_2)
	v_lshrrev_b64 v[15:16], v18, v[1:2]
	v_not_b32_e32 v14, v6
	s_delay_alu instid0(VALU_DEP_3) | instskip(SKIP_1) | instid1(VALU_DEP_3)
	v_not_b32_e32 v19, v5
	v_lshlrev_b64 v[5:6], v13, 1
	v_and_b32_e32 v14, 0, v14
	s_delay_alu instid0(VALU_DEP_3) | instskip(SKIP_1) | instid1(VALU_DEP_2)
	v_and_b32_e32 v13, v1, v19
	v_and_b32_e32 v1, 0x100000, v15
	v_cmp_eq_u64_e64 s0, v[13:14], v[5:6]
	s_delay_alu instid0(VALU_DEP_2) | instskip(SKIP_2) | instid1(VALU_DEP_3)
	v_cmp_eq_u64_e64 s1, 0, v[1:2]
	v_cndmask_b32_e64 v1, v17, 0xffffff89, vcc_lo
	v_lshrrev_b32_e32 v5, 23, v15
	s_and_b32 vcc_lo, s1, s0
	s_delay_alu instid0(VALU_DEP_1) | instskip(SKIP_2) | instid1(VALU_DEP_2)
	v_add3_u32 v13, v1, v18, v5
	v_subrev_co_ci_u32_e32 v6, vcc_lo, 0, v15, vcc_lo
	s_mov_b32 s0, exec_lo
	v_add_nc_u32_e32 v14, -1, v13
	s_delay_alu instid0(VALU_DEP_2) | instskip(NEXT) | instid1(VALU_DEP_1)
	v_and_b32_e32 v1, 0xfffff, v6
	v_add_co_u32 v5, vcc_lo, v1, v15
	v_add_co_ci_u32_e32 v6, vcc_lo, 0, v16, vcc_lo
                                        ; implicit-def: $vgpr1
	s_delay_alu instid0(VALU_DEP_4)
	v_cmpx_ne_u32_e32 0, v14
	s_xor_b32 s0, exec_lo, s0
; %bb.32:                               ;   in Loop: Header=BB23_28 Depth=1
	s_delay_alu instid0(VALU_DEP_3) | instskip(SKIP_1) | instid1(VALU_DEP_2)
	v_and_b32_e32 v1, 0x1000000, v5
	v_bfe_u32 v15, v5, 24, 1
	v_cmp_eq_u64_e32 vcc_lo, 0, v[1:2]
	s_delay_alu instid0(VALU_DEP_2)
	v_lshrrev_b64 v[5:6], v15, v[5:6]
	v_cndmask_b32_e32 v1, v13, v14, vcc_lo
; %bb.33:                               ;   in Loop: Header=BB23_28 Depth=1
	s_and_not1_saveexec_b32 s0, s0
; %bb.34:                               ;   in Loop: Header=BB23_28 Depth=1
	s_delay_alu instid0(VALU_DEP_2)
	v_bfe_u32 v1, v5, 23, 1
; %bb.35:                               ;   in Loop: Header=BB23_28 Depth=1
	s_or_b32 exec_lo, exec_lo, s0
	s_delay_alu instid0(VALU_DEP_3) | instskip(NEXT) | instid1(VALU_DEP_2)
	v_lshrrev_b64 v[5:6], 20, v[5:6]
	v_cmp_gt_i32_e32 vcc_lo, 16, v1
	v_cmp_ne_u32_e64 s0, 0, v1
	s_delay_alu instid0(VALU_DEP_3) | instskip(NEXT) | instid1(VALU_DEP_1)
	v_dual_cndmask_b32 v6, 0, v6 :: v_dual_cndmask_b32 v5, 7, v5
	v_cmp_ne_u64_e32 vcc_lo, 0, v[5:6]
                                        ; implicit-def: $vgpr6
	s_delay_alu instid0(VALU_DEP_3) | instskip(NEXT) | instid1(SALU_CYCLE_1)
	s_or_b32 s0, s0, vcc_lo
	s_and_saveexec_b32 s1, s0
	s_delay_alu instid0(SALU_CYCLE_1)
	s_xor_b32 s0, exec_lo, s1
; %bb.36:                               ;   in Loop: Header=BB23_28 Depth=1
	v_min_i32_e32 v1, 15, v1
	s_delay_alu instid0(VALU_DEP_1) | instskip(NEXT) | instid1(VALU_DEP_1)
	v_lshl_or_b32 v1, v1, 3, v12
                                        ; implicit-def: $vgpr12
	v_and_or_b32 v6, v5, 7, v1
; %bb.37:                               ;   in Loop: Header=BB23_28 Depth=1
	s_and_not1_saveexec_b32 s0, s0
; %bb.38:                               ;   in Loop: Header=BB23_28 Depth=1
	v_mov_b32_e32 v6, v12
; %bb.39:                               ;   in Loop: Header=BB23_28 Depth=1
	s_or_b32 exec_lo, exec_lo, s0
.LBB23_40:                              ;   in Loop: Header=BB23_28 Depth=1
	s_delay_alu instid0(SALU_CYCLE_1)
	s_or_b32 exec_lo, exec_lo, s16
.LBB23_41:                              ;   in Loop: Header=BB23_28 Depth=1
	s_and_not1_saveexec_b32 s0, s15
	s_delay_alu instid0(SALU_CYCLE_1)
	s_or_b32 exec_lo, exec_lo, s0
                                        ; implicit-def: $vgpr13
.LBB23_42:                              ;   in Loop: Header=BB23_28 Depth=1
	s_and_not1_saveexec_b32 s0, s14
; %bb.43:                               ;   in Loop: Header=BB23_28 Depth=1
	v_cmp_eq_u64_e32 vcc_lo, 0, v[1:2]
	v_or_b32_e32 v5, 0x7f, v13
	s_delay_alu instid0(VALU_DEP_1)
	v_cndmask_b32_e32 v6, v5, v6, vcc_lo
; %bb.44:                               ;   in Loop: Header=BB23_28 Depth=1
	s_or_b32 exec_lo, exec_lo, s0
	v_dual_mov_b32 v14, v2 :: v_dual_and_b32 v1, 0xffff0000, v11
	global_store_b8 v8, v6, s[2:3]
	s_mov_b32 s0, exec_lo
	v_dual_mul_f32 v1, v7, v1 :: v_dual_and_b32 v10, 0xffff0000, v10
	s_delay_alu instid0(VALU_DEP_1) | instskip(SKIP_1) | instid1(VALU_DEP_2)
	v_bfe_u32 v5, v1, 16, 1
	v_cmp_o_f32_e32 vcc_lo, v1, v1
	v_add3_u32 v5, v1, v5, 0x7fff
	s_delay_alu instid0(VALU_DEP_1) | instskip(NEXT) | instid1(VALU_DEP_1)
	v_and_b32_e32 v5, 0xffff0000, v5
	v_cndmask_b32_e32 v1, 0x7fc00000, v5, vcc_lo
	s_delay_alu instid0(VALU_DEP_1) | instskip(NEXT) | instid1(VALU_DEP_1)
	v_mul_f32_e32 v1, v1, v10
	v_bfe_u32 v5, v1, 16, 1
	v_cmp_o_f32_e32 vcc_lo, v1, v1
	s_delay_alu instid0(VALU_DEP_2) | instskip(NEXT) | instid1(VALU_DEP_1)
	v_add3_u32 v5, v1, v5, 0x7fff
	v_and_b32_e32 v5, 0xffff0000, v5
	s_delay_alu instid0(VALU_DEP_1) | instskip(NEXT) | instid1(VALU_DEP_1)
	v_cndmask_b32_e32 v1, 0x7fc00000, v5, vcc_lo
	v_mul_f32_e32 v1, v9, v1
	s_delay_alu instid0(VALU_DEP_1) | instskip(NEXT) | instid1(VALU_DEP_1)
	v_minmax_f32 v5, v1, s13, 0xc3e00000
	v_lshrrev_b32_e32 v12, 24, v5
	v_and_b32_e32 v13, 0x7f800000, v5
	v_and_b32_e32 v1, 0x7fffff, v5
	s_delay_alu instid0(VALU_DEP_3) | instskip(NEXT) | instid1(VALU_DEP_1)
	v_and_b32_e32 v10, 0x80, v12
	v_or_b32_e32 v11, 0x7e, v10
	s_delay_alu instid0(VALU_DEP_4)
	v_cmpx_ne_u64_e32 0x7f800000, v[13:14]
	s_xor_b32 s14, exec_lo, s0
	s_cbranch_execz .LBB23_58
; %bb.45:                               ;   in Loop: Header=BB23_28 Depth=1
	v_dual_mov_b32 v13, v2 :: v_dual_and_b32 v12, 0x7fffffff, v5
	s_mov_b32 s0, exec_lo
	s_delay_alu instid0(VALU_DEP_1)
	v_cmpx_gt_u64_e32 0x43e00001, v[12:13]
	s_xor_b32 s15, exec_lo, s0
	s_cbranch_execz .LBB23_57
; %bb.46:                               ;   in Loop: Header=BB23_28 Depth=1
	v_mov_b32_e32 v11, 0
	s_mov_b32 s16, exec_lo
	v_cmpx_ne_u32_e32 0, v5
	s_cbranch_execz .LBB23_56
; %bb.47:                               ;   in Loop: Header=BB23_28 Depth=1
	v_bfe_u32 v15, v5, 23, 8
	s_delay_alu instid0(VALU_DEP_1) | instskip(SKIP_2) | instid1(VALU_DEP_3)
	v_sub_nc_u32_e64 v5, 0x79, v15 clamp
	v_cmp_eq_u32_e32 vcc_lo, 0, v15
	v_add_nc_u32_e32 v15, 0xffffff88, v15
	v_cndmask_b32_e64 v16, v5, 0x78, vcc_lo
	v_or_b32_e32 v5, 0x800000, v1
	s_delay_alu instid0(VALU_DEP_1) | instskip(SKIP_1) | instid1(VALU_DEP_2)
	v_dual_cndmask_b32 v1, v5, v1 :: v_dual_add_nc_u32 v6, 20, v16
	v_add_nc_u32_e32 v11, 19, v16
	v_lshlrev_b64 v[5:6], v6, -1
	s_delay_alu instid0(VALU_DEP_3) | instskip(NEXT) | instid1(VALU_DEP_2)
	v_lshrrev_b64 v[13:14], v16, v[1:2]
	v_not_b32_e32 v12, v6
	s_delay_alu instid0(VALU_DEP_3) | instskip(SKIP_1) | instid1(VALU_DEP_3)
	v_not_b32_e32 v17, v5
	v_lshlrev_b64 v[5:6], v11, 1
	v_and_b32_e32 v12, 0, v12
	s_delay_alu instid0(VALU_DEP_3) | instskip(SKIP_1) | instid1(VALU_DEP_2)
	v_and_b32_e32 v11, v1, v17
	v_and_b32_e32 v1, 0x100000, v13
	v_cmp_eq_u64_e64 s0, v[11:12], v[5:6]
	s_delay_alu instid0(VALU_DEP_2) | instskip(SKIP_2) | instid1(VALU_DEP_3)
	v_cmp_eq_u64_e64 s1, 0, v[1:2]
	v_cndmask_b32_e64 v1, v15, 0xffffff89, vcc_lo
	v_lshrrev_b32_e32 v5, 23, v13
	s_and_b32 vcc_lo, s1, s0
	s_delay_alu instid0(VALU_DEP_1) | instskip(SKIP_2) | instid1(VALU_DEP_2)
	v_add3_u32 v11, v1, v16, v5
	v_subrev_co_ci_u32_e32 v6, vcc_lo, 0, v13, vcc_lo
	s_mov_b32 s0, exec_lo
	v_add_nc_u32_e32 v12, -1, v11
	s_delay_alu instid0(VALU_DEP_2) | instskip(NEXT) | instid1(VALU_DEP_1)
	v_and_b32_e32 v1, 0xfffff, v6
	v_add_co_u32 v5, vcc_lo, v1, v13
	v_add_co_ci_u32_e32 v6, vcc_lo, 0, v14, vcc_lo
                                        ; implicit-def: $vgpr1
	s_delay_alu instid0(VALU_DEP_4)
	v_cmpx_ne_u32_e32 0, v12
	s_xor_b32 s0, exec_lo, s0
; %bb.48:                               ;   in Loop: Header=BB23_28 Depth=1
	s_delay_alu instid0(VALU_DEP_3) | instskip(SKIP_1) | instid1(VALU_DEP_2)
	v_and_b32_e32 v1, 0x1000000, v5
	v_bfe_u32 v13, v5, 24, 1
	v_cmp_eq_u64_e32 vcc_lo, 0, v[1:2]
	s_delay_alu instid0(VALU_DEP_2)
	v_lshrrev_b64 v[5:6], v13, v[5:6]
	v_cndmask_b32_e32 v1, v11, v12, vcc_lo
; %bb.49:                               ;   in Loop: Header=BB23_28 Depth=1
	s_and_not1_saveexec_b32 s0, s0
; %bb.50:                               ;   in Loop: Header=BB23_28 Depth=1
	s_delay_alu instid0(VALU_DEP_2)
	v_bfe_u32 v1, v5, 23, 1
; %bb.51:                               ;   in Loop: Header=BB23_28 Depth=1
	s_or_b32 exec_lo, exec_lo, s0
	s_delay_alu instid0(VALU_DEP_3) | instskip(NEXT) | instid1(VALU_DEP_2)
	v_lshrrev_b64 v[5:6], 20, v[5:6]
	v_cmp_gt_i32_e32 vcc_lo, 16, v1
	v_cmp_ne_u32_e64 s0, 0, v1
                                        ; implicit-def: $vgpr11
	s_delay_alu instid0(VALU_DEP_3) | instskip(NEXT) | instid1(VALU_DEP_1)
	v_dual_cndmask_b32 v6, 0, v6 :: v_dual_cndmask_b32 v5, 7, v5
	v_cmp_ne_u64_e32 vcc_lo, 0, v[5:6]
	s_delay_alu instid0(VALU_DEP_3) | instskip(NEXT) | instid1(SALU_CYCLE_1)
	s_or_b32 s0, s0, vcc_lo
	s_and_saveexec_b32 s1, s0
	s_delay_alu instid0(SALU_CYCLE_1)
	s_xor_b32 s0, exec_lo, s1
; %bb.52:                               ;   in Loop: Header=BB23_28 Depth=1
	v_min_i32_e32 v1, 15, v1
	s_delay_alu instid0(VALU_DEP_1) | instskip(NEXT) | instid1(VALU_DEP_1)
	v_lshl_or_b32 v1, v1, 3, v10
                                        ; implicit-def: $vgpr10
	v_and_or_b32 v11, v5, 7, v1
; %bb.53:                               ;   in Loop: Header=BB23_28 Depth=1
	s_and_not1_saveexec_b32 s0, s0
; %bb.54:                               ;   in Loop: Header=BB23_28 Depth=1
	v_mov_b32_e32 v11, v10
; %bb.55:                               ;   in Loop: Header=BB23_28 Depth=1
	s_or_b32 exec_lo, exec_lo, s0
.LBB23_56:                              ;   in Loop: Header=BB23_28 Depth=1
	s_delay_alu instid0(SALU_CYCLE_1)
	s_or_b32 exec_lo, exec_lo, s16
.LBB23_57:                              ;   in Loop: Header=BB23_28 Depth=1
	s_and_not1_saveexec_b32 s0, s15
	s_delay_alu instid0(SALU_CYCLE_1)
	s_or_b32 exec_lo, exec_lo, s0
                                        ; implicit-def: $vgpr12
.LBB23_58:                              ;   in Loop: Header=BB23_28 Depth=1
	s_and_not1_saveexec_b32 s0, s14
	s_cbranch_execz .LBB23_27
; %bb.59:                               ;   in Loop: Header=BB23_28 Depth=1
	v_cmp_eq_u64_e32 vcc_lo, 0, v[1:2]
	v_or_b32_e32 v5, 0x7f, v12
	s_delay_alu instid0(VALU_DEP_1)
	v_cndmask_b32_e32 v11, v5, v11, vcc_lo
	s_branch .LBB23_27
.LBB23_60:
	s_nop 0
	s_sendmsg sendmsg(MSG_DEALLOC_VGPRS)
	s_endpgm
	.section	.rodata,"a",@progbits
	.p2align	6, 0x0
	.amdhsa_kernel _ZN4vllm32rms_norm_static_fp8_quant_kernelIN3c108BFloat16ENS1_13Float8_e4m3fnELi2EEEvPT0_PKT_iS8_PKffii
		.amdhsa_group_segment_fixed_size 132
		.amdhsa_private_segment_fixed_size 0
		.amdhsa_kernarg_size 312
		.amdhsa_user_sgpr_count 15
		.amdhsa_user_sgpr_dispatch_ptr 0
		.amdhsa_user_sgpr_queue_ptr 0
		.amdhsa_user_sgpr_kernarg_segment_ptr 1
		.amdhsa_user_sgpr_dispatch_id 0
		.amdhsa_user_sgpr_private_segment_size 0
		.amdhsa_wavefront_size32 1
		.amdhsa_uses_dynamic_stack 0
		.amdhsa_enable_private_segment 0
		.amdhsa_system_sgpr_workgroup_id_x 1
		.amdhsa_system_sgpr_workgroup_id_y 0
		.amdhsa_system_sgpr_workgroup_id_z 0
		.amdhsa_system_sgpr_workgroup_info 0
		.amdhsa_system_vgpr_workitem_id 0
		.amdhsa_next_free_vgpr 20
		.amdhsa_next_free_sgpr 20
		.amdhsa_reserve_vcc 1
		.amdhsa_float_round_mode_32 0
		.amdhsa_float_round_mode_16_64 0
		.amdhsa_float_denorm_mode_32 3
		.amdhsa_float_denorm_mode_16_64 3
		.amdhsa_dx10_clamp 1
		.amdhsa_ieee_mode 1
		.amdhsa_fp16_overflow 0
		.amdhsa_workgroup_processor_mode 1
		.amdhsa_memory_ordered 1
		.amdhsa_forward_progress 0
		.amdhsa_shared_vgpr_count 0
		.amdhsa_exception_fp_ieee_invalid_op 0
		.amdhsa_exception_fp_denorm_src 0
		.amdhsa_exception_fp_ieee_div_zero 0
		.amdhsa_exception_fp_ieee_overflow 0
		.amdhsa_exception_fp_ieee_underflow 0
		.amdhsa_exception_fp_ieee_inexact 0
		.amdhsa_exception_int_div_zero 0
	.end_amdhsa_kernel
	.section	.text._ZN4vllm32rms_norm_static_fp8_quant_kernelIN3c108BFloat16ENS1_13Float8_e4m3fnELi2EEEvPT0_PKT_iS8_PKffii,"axG",@progbits,_ZN4vllm32rms_norm_static_fp8_quant_kernelIN3c108BFloat16ENS1_13Float8_e4m3fnELi2EEEvPT0_PKT_iS8_PKffii,comdat
.Lfunc_end23:
	.size	_ZN4vllm32rms_norm_static_fp8_quant_kernelIN3c108BFloat16ENS1_13Float8_e4m3fnELi2EEEvPT0_PKT_iS8_PKffii, .Lfunc_end23-_ZN4vllm32rms_norm_static_fp8_quant_kernelIN3c108BFloat16ENS1_13Float8_e4m3fnELi2EEEvPT0_PKT_iS8_PKffii
                                        ; -- End function
	.section	.AMDGPU.csdata,"",@progbits
; Kernel info:
; codeLenInByte = 3236
; NumSgprs: 22
; NumVgprs: 20
; ScratchSize: 0
; MemoryBound: 0
; FloatMode: 240
; IeeeMode: 1
; LDSByteSize: 132 bytes/workgroup (compile time only)
; SGPRBlocks: 2
; VGPRBlocks: 2
; NumSGPRsForWavesPerEU: 22
; NumVGPRsForWavesPerEU: 20
; Occupancy: 16
; WaveLimiterHint : 0
; COMPUTE_PGM_RSRC2:SCRATCH_EN: 0
; COMPUTE_PGM_RSRC2:USER_SGPR: 15
; COMPUTE_PGM_RSRC2:TRAP_HANDLER: 0
; COMPUTE_PGM_RSRC2:TGID_X_EN: 1
; COMPUTE_PGM_RSRC2:TGID_Y_EN: 0
; COMPUTE_PGM_RSRC2:TGID_Z_EN: 0
; COMPUTE_PGM_RSRC2:TIDIG_COMP_CNT: 0
	.section	.text._ZN4vllm32rms_norm_static_fp8_quant_kernelIN3c108BFloat16ENS1_13Float8_e4m3fnELi1EEEvPT0_PKT_iS8_PKffii,"axG",@progbits,_ZN4vllm32rms_norm_static_fp8_quant_kernelIN3c108BFloat16ENS1_13Float8_e4m3fnELi1EEEvPT0_PKT_iS8_PKffii,comdat
	.protected	_ZN4vllm32rms_norm_static_fp8_quant_kernelIN3c108BFloat16ENS1_13Float8_e4m3fnELi1EEEvPT0_PKT_iS8_PKffii ; -- Begin function _ZN4vllm32rms_norm_static_fp8_quant_kernelIN3c108BFloat16ENS1_13Float8_e4m3fnELi1EEEvPT0_PKT_iS8_PKffii
	.globl	_ZN4vllm32rms_norm_static_fp8_quant_kernelIN3c108BFloat16ENS1_13Float8_e4m3fnELi1EEEvPT0_PKT_iS8_PKffii
	.p2align	8
	.type	_ZN4vllm32rms_norm_static_fp8_quant_kernelIN3c108BFloat16ENS1_13Float8_e4m3fnELi1EEEvPT0_PKT_iS8_PKffii,@function
_ZN4vllm32rms_norm_static_fp8_quant_kernelIN3c108BFloat16ENS1_13Float8_e4m3fnELi1EEEvPT0_PKT_iS8_PKffii: ; @_ZN4vllm32rms_norm_static_fp8_quant_kernelIN3c108BFloat16ENS1_13Float8_e4m3fnELi1EEEvPT0_PKT_iS8_PKffii
; %bb.0:
	s_clause 0x3
	s_load_b32 s2, s[0:1], 0x10
	s_load_b64 s[4:5], s[0:1], 0x8
	s_load_b32 s11, s[0:1], 0x44
	s_load_b32 s8, s[0:1], 0x30
	s_mov_b32 s3, 0
	s_waitcnt lgkmcnt(0)
	s_mul_i32 s2, s15, s2
	s_delay_alu instid0(SALU_CYCLE_1) | instskip(NEXT) | instid1(SALU_CYCLE_1)
	s_lshl_b64 s[6:7], s[2:3], 1
	s_add_u32 s9, s4, s6
	s_addc_u32 s10, s5, s7
	s_and_b32 s11, s11, 0xffff
	s_bitcmp1_b32 s9, 0
	s_cselect_b32 s2, -1, 0
	s_delay_alu instid0(SALU_CYCLE_1)
	s_and_b32 vcc_lo, exec_lo, s2
	s_cbranch_vccz .LBB24_6
; %bb.1:
	v_mov_b32_e32 v3, 0
	s_min_i32 s2, s8, 0
	s_mov_b32 s12, exec_lo
	s_sub_i32 s13, s8, s2
	s_delay_alu instid0(SALU_CYCLE_1)
	v_cmpx_gt_i32_e64 s13, v0
	s_cbranch_execz .LBB24_5
; %bb.2:
	s_ashr_i32 s3, s2, 31
	v_dual_mov_b32 v4, v0 :: v_dual_lshlrev_b32 v1, 1, v0
	s_lshl_b64 s[2:3], s[2:3], 1
	s_add_u32 s14, s4, s6
	s_addc_u32 s16, s5, s7
	s_add_u32 s2, s14, s2
	s_addc_u32 s3, s16, s3
	v_add_co_u32 v1, s2, s2, v1
	s_delay_alu instid0(VALU_DEP_1)
	v_add_co_ci_u32_e64 v2, null, s3, 0, s2
	v_mov_b32_e32 v3, 0
	s_mov_b32 s3, 0
	s_lshl_b32 s14, s11, 1
.LBB24_3:                               ; =>This Inner Loop Header: Depth=1
	global_load_u16 v5, v[1:2], off
	v_add_co_u32 v1, vcc_lo, v1, s14
	v_add_co_ci_u32_e32 v2, vcc_lo, 0, v2, vcc_lo
	s_waitcnt vmcnt(0)
	v_lshlrev_b32_e32 v5, 16, v5
	s_delay_alu instid0(VALU_DEP_1) | instskip(NEXT) | instid1(VALU_DEP_1)
	v_dual_fmac_f32 v3, v5, v5 :: v_dual_add_nc_u32 v4, s11, v4
	v_cmp_le_i32_e64 s2, s13, v4
	s_delay_alu instid0(VALU_DEP_1) | instskip(NEXT) | instid1(SALU_CYCLE_1)
	s_or_b32 s3, s2, s3
	s_and_not1_b32 exec_lo, exec_lo, s3
	s_cbranch_execnz .LBB24_3
; %bb.4:
	s_or_b32 exec_lo, exec_lo, s3
.LBB24_5:
	s_delay_alu instid0(SALU_CYCLE_1)
	s_or_b32 exec_lo, exec_lo, s12
	v_cmp_gt_i32_e64 s2, s8, v0
	s_cbranch_execz .LBB24_7
	s_branch .LBB24_12
.LBB24_6:
                                        ; implicit-def: $vgpr3
	v_cmp_gt_i32_e64 s2, s8, v0
.LBB24_7:
	v_mov_b32_e32 v3, 0
	s_delay_alu instid0(VALU_DEP_2)
	s_and_saveexec_b32 s3, s2
	s_cbranch_execz .LBB24_11
; %bb.8:
	v_dual_mov_b32 v4, v0 :: v_dual_lshlrev_b32 v1, 1, v0
	s_add_u32 s2, s4, s6
	s_addc_u32 s4, s5, s7
	v_mov_b32_e32 v3, 0
	s_delay_alu instid0(VALU_DEP_2) | instskip(NEXT) | instid1(VALU_DEP_1)
	v_add_co_u32 v1, s2, s2, v1
	v_add_co_ci_u32_e64 v2, null, s4, 0, s2
	s_mov_b32 s4, 0
	s_lshl_b32 s5, s11, 1
.LBB24_9:                               ; =>This Inner Loop Header: Depth=1
	global_load_u16 v5, v[1:2], off
	v_add_co_u32 v1, vcc_lo, v1, s5
	v_add_co_ci_u32_e32 v2, vcc_lo, 0, v2, vcc_lo
	s_waitcnt vmcnt(0)
	v_lshlrev_b32_e32 v5, 16, v5
	s_delay_alu instid0(VALU_DEP_1) | instskip(NEXT) | instid1(VALU_DEP_1)
	v_dual_fmac_f32 v3, v5, v5 :: v_dual_add_nc_u32 v4, s11, v4
	v_cmp_le_i32_e64 s2, s8, v4
	s_delay_alu instid0(VALU_DEP_1) | instskip(NEXT) | instid1(SALU_CYCLE_1)
	s_or_b32 s4, s2, s4
	s_and_not1_b32 exec_lo, exec_lo, s4
	s_cbranch_execnz .LBB24_9
; %bb.10:
	s_or_b32 exec_lo, exec_lo, s4
.LBB24_11:
	s_delay_alu instid0(SALU_CYCLE_1)
	s_or_b32 exec_lo, exec_lo, s3
.LBB24_12:
	v_mbcnt_lo_u32_b32 v1, -1, 0
	s_mov_b32 s2, exec_lo
	s_delay_alu instid0(VALU_DEP_1) | instskip(SKIP_2) | instid1(VALU_DEP_2)
	v_cmp_ne_u32_e32 vcc_lo, 31, v1
	v_add_co_ci_u32_e32 v2, vcc_lo, 0, v1, vcc_lo
	v_cmp_gt_u32_e32 vcc_lo, 30, v1
	v_lshlrev_b32_e32 v2, 2, v2
	v_cndmask_b32_e64 v6, 0, 1, vcc_lo
	ds_bpermute_b32 v5, v2, v3
	s_waitcnt lgkmcnt(0)
	v_dual_add_f32 v7, v3, v5 :: v_dual_and_b32 v4, 0x3e0, v0
	s_delay_alu instid0(VALU_DEP_1) | instskip(SKIP_1) | instid1(VALU_DEP_1)
	v_sub_nc_u32_e64 v12, s11, v4 clamp
	v_add_nc_u32_e32 v4, 1, v1
	v_cmp_lt_u32_e32 vcc_lo, v4, v12
	s_delay_alu instid0(VALU_DEP_4) | instskip(SKIP_2) | instid1(VALU_DEP_1)
	v_cndmask_b32_e32 v7, v3, v7, vcc_lo
	v_cmp_gt_u32_e32 vcc_lo, 28, v1
	v_cndmask_b32_e64 v3, 0, 1, vcc_lo
	v_lshlrev_b32_e32 v8, 2, v3
	v_add_nc_u32_e32 v3, 2, v1
	s_delay_alu instid0(VALU_DEP_1) | instskip(SKIP_1) | instid1(VALU_DEP_1)
	v_cmp_lt_u32_e32 vcc_lo, v3, v12
	v_lshlrev_b32_e32 v6, 1, v6
	v_add_lshl_u32 v5, v6, v1, 2
	ds_bpermute_b32 v6, v5, v7
	s_waitcnt lgkmcnt(0)
	v_add_f32_e32 v9, v7, v6
	v_add_lshl_u32 v6, v8, v1, 2
	s_delay_alu instid0(VALU_DEP_2) | instskip(SKIP_3) | instid1(VALU_DEP_1)
	v_cndmask_b32_e32 v9, v7, v9, vcc_lo
	v_cmp_gt_u32_e32 vcc_lo, 24, v1
	ds_bpermute_b32 v8, v6, v9
	v_cndmask_b32_e64 v7, 0, 1, vcc_lo
	v_lshlrev_b32_e32 v10, 3, v7
	v_add_nc_u32_e32 v7, 4, v1
	s_delay_alu instid0(VALU_DEP_1) | instskip(SKIP_3) | instid1(VALU_DEP_2)
	v_cmp_lt_u32_e32 vcc_lo, v7, v12
	s_waitcnt lgkmcnt(0)
	v_add_f32_e32 v11, v9, v8
	v_add_lshl_u32 v8, v10, v1, 2
	v_cndmask_b32_e32 v11, v9, v11, vcc_lo
	v_cmp_gt_u32_e32 vcc_lo, 16, v1
	ds_bpermute_b32 v10, v8, v11
	v_cndmask_b32_e64 v9, 0, 1, vcc_lo
	s_delay_alu instid0(VALU_DEP_1) | instskip(SKIP_1) | instid1(VALU_DEP_1)
	v_lshlrev_b32_e32 v13, 4, v9
	v_add_nc_u32_e32 v9, 8, v1
	v_cmp_lt_u32_e32 vcc_lo, v9, v12
	s_waitcnt lgkmcnt(0)
	v_add_f32_e32 v14, v11, v10
	v_add_lshl_u32 v10, v13, v1, 2
	s_delay_alu instid0(VALU_DEP_2)
	v_cndmask_b32_e32 v13, v11, v14, vcc_lo
	v_add_nc_u32_e32 v11, 16, v1
	ds_bpermute_b32 v14, v10, v13
	v_cmp_lt_u32_e32 vcc_lo, v11, v12
	s_waitcnt lgkmcnt(0)
	v_add_f32_e32 v14, v13, v14
	s_delay_alu instid0(VALU_DEP_1)
	v_cndmask_b32_e32 v12, v13, v14, vcc_lo
	v_cmpx_eq_u32_e32 0, v1
	s_cbranch_execz .LBB24_14
; %bb.13:
	v_lshrrev_b32_e32 v13, 3, v0
	s_delay_alu instid0(VALU_DEP_1)
	v_and_b32_e32 v13, 0x7c, v13
	ds_store_b32 v13, v12
.LBB24_14:
	s_or_b32 exec_lo, exec_lo, s2
	s_delay_alu instid0(SALU_CYCLE_1)
	s_mov_b32 s2, exec_lo
	s_waitcnt lgkmcnt(0)
	s_barrier
	buffer_gl0_inv
	v_cmpx_gt_u32_e32 32, v0
	s_cbranch_execz .LBB24_16
; %bb.15:
	v_lshlrev_b32_e32 v1, 2, v1
	s_add_i32 s3, s11, 31
	s_delay_alu instid0(SALU_CYCLE_1) | instskip(NEXT) | instid1(SALU_CYCLE_1)
	s_lshr_b32 s3, s3, 5
	v_cmp_gt_u32_e32 vcc_lo, s3, v4
	ds_load_b32 v1, v1
	s_waitcnt lgkmcnt(0)
	ds_bpermute_b32 v2, v2, v1
	s_waitcnt lgkmcnt(0)
	v_add_f32_e32 v2, v1, v2
	s_delay_alu instid0(VALU_DEP_1) | instskip(SKIP_4) | instid1(VALU_DEP_1)
	v_cndmask_b32_e32 v1, v1, v2, vcc_lo
	v_cmp_gt_u32_e32 vcc_lo, s3, v3
	ds_bpermute_b32 v2, v5, v1
	s_waitcnt lgkmcnt(0)
	v_add_f32_e32 v2, v1, v2
	v_cndmask_b32_e32 v1, v1, v2, vcc_lo
	v_cmp_gt_u32_e32 vcc_lo, s3, v7
	ds_bpermute_b32 v2, v6, v1
	s_waitcnt lgkmcnt(0)
	v_add_f32_e32 v2, v1, v2
	s_delay_alu instid0(VALU_DEP_1) | instskip(SKIP_4) | instid1(VALU_DEP_1)
	v_cndmask_b32_e32 v1, v1, v2, vcc_lo
	v_cmp_gt_u32_e32 vcc_lo, s3, v9
	ds_bpermute_b32 v2, v8, v1
	s_waitcnt lgkmcnt(0)
	v_add_f32_e32 v2, v1, v2
	v_cndmask_b32_e32 v1, v1, v2, vcc_lo
	v_cmp_gt_u32_e32 vcc_lo, s3, v11
	ds_bpermute_b32 v2, v10, v1
	s_waitcnt lgkmcnt(0)
	v_add_f32_e32 v2, v1, v2
	s_delay_alu instid0(VALU_DEP_1)
	v_cndmask_b32_e32 v12, v1, v2, vcc_lo
.LBB24_16:
	s_or_b32 exec_lo, exec_lo, s2
	s_delay_alu instid0(SALU_CYCLE_1)
	s_mov_b32 s2, exec_lo
	v_cmpx_eq_u32_e32 0, v0
	s_cbranch_execz .LBB24_18
; %bb.17:
	v_cvt_f32_i32_e32 v1, s8
	s_load_b32 s3, s[0:1], 0x28
	s_delay_alu instid0(VALU_DEP_1) | instskip(SKIP_1) | instid1(VALU_DEP_2)
	v_div_scale_f32 v2, null, v1, v1, v12
	v_div_scale_f32 v5, vcc_lo, v12, v1, v12
	v_rcp_f32_e32 v3, v2
	s_waitcnt_depctr 0xfff
	v_fma_f32 v4, -v2, v3, 1.0
	s_delay_alu instid0(VALU_DEP_1) | instskip(NEXT) | instid1(VALU_DEP_1)
	v_fmac_f32_e32 v3, v4, v3
	v_mul_f32_e32 v4, v5, v3
	s_delay_alu instid0(VALU_DEP_1) | instskip(NEXT) | instid1(VALU_DEP_1)
	v_fma_f32 v6, -v2, v4, v5
	v_fmac_f32_e32 v4, v6, v3
	s_delay_alu instid0(VALU_DEP_1) | instskip(NEXT) | instid1(VALU_DEP_1)
	v_fma_f32 v2, -v2, v4, v5
	v_div_fmas_f32 v2, v2, v3, v4
	s_delay_alu instid0(VALU_DEP_1) | instskip(SKIP_1) | instid1(VALU_DEP_1)
	v_div_fixup_f32 v1, v2, v1, v12
	s_waitcnt lgkmcnt(0)
	v_add_f32_e32 v1, s3, v1
	s_delay_alu instid0(VALU_DEP_1) | instskip(SKIP_1) | instid1(VALU_DEP_2)
	v_mul_f32_e32 v2, 0x4b800000, v1
	v_cmp_gt_f32_e32 vcc_lo, 0x800000, v1
	v_cndmask_b32_e32 v1, v1, v2, vcc_lo
	s_delay_alu instid0(VALU_DEP_1) | instskip(SKIP_2) | instid1(VALU_DEP_1)
	v_rsq_f32_e32 v1, v1
	s_waitcnt_depctr 0xfff
	v_mul_f32_e32 v2, 0x45800000, v1
	v_dual_cndmask_b32 v1, v1, v2 :: v_dual_mov_b32 v2, 0
	ds_store_b32 v2, v1 offset:128
.LBB24_18:
	s_or_b32 exec_lo, exec_lo, s2
	s_waitcnt lgkmcnt(0)
	s_barrier
	buffer_gl0_inv
	s_mov_b32 s2, exec_lo
	v_cmpx_gt_i32_e64 s8, v0
	s_cbranch_execz .LBB24_37
; %bb.19:
	s_clause 0x1
	s_load_b128 s[4:7], s[0:1], 0x18
	s_load_b64 s[2:3], s[0:1], 0x0
	s_mul_i32 s15, s15, s8
	s_waitcnt lgkmcnt(0)
	s_load_b32 s6, s[6:7], 0x0
	s_mov_b32 s7, 0x43e00000
	s_waitcnt lgkmcnt(0)
	v_div_scale_f32 v1, null, s6, s6, 1.0
	v_div_scale_f32 v4, vcc_lo, 1.0, s6, 1.0
	s_delay_alu instid0(VALU_DEP_2) | instskip(SKIP_2) | instid1(VALU_DEP_1)
	v_rcp_f32_e32 v3, v1
	s_waitcnt_depctr 0xfff
	v_fma_f32 v2, -v1, v3, 1.0
	v_dual_fmac_f32 v3, v2, v3 :: v_dual_mov_b32 v2, 0
	s_delay_alu instid0(VALU_DEP_1) | instskip(NEXT) | instid1(VALU_DEP_1)
	v_mul_f32_e32 v6, v4, v3
	v_fma_f32 v5, -v1, v6, v4
	s_delay_alu instid0(VALU_DEP_1) | instskip(SKIP_2) | instid1(VALU_DEP_1)
	v_fmac_f32_e32 v6, v5, v3
	ds_load_b32 v5, v2 offset:128
	v_fma_f32 v1, -v1, v6, v4
	v_div_fmas_f32 v1, v1, v3, v6
	s_delay_alu instid0(VALU_DEP_1)
	v_div_fixup_f32 v6, v1, s6, 1.0
	s_mov_b32 s6, 0
	s_branch .LBB24_21
.LBB24_20:                              ;   in Loop: Header=BB24_21 Depth=1
	s_or_b32 exec_lo, exec_lo, s0
	v_add_nc_u32_e32 v1, s15, v0
	v_add_nc_u32_e32 v0, s11, v0
	global_store_b8 v1, v4, s[2:3]
	v_cmp_le_i32_e32 vcc_lo, s8, v0
	s_or_b32 s6, vcc_lo, s6
	s_delay_alu instid0(SALU_CYCLE_1)
	s_and_not1_b32 exec_lo, exec_lo, s6
	s_cbranch_execz .LBB24_37
.LBB24_21:                              ; =>This Inner Loop Header: Depth=1
	v_ashrrev_i32_e32 v1, 31, v0
	s_mov_b32 s0, exec_lo
	v_mov_b32_e32 v10, v2
	s_delay_alu instid0(VALU_DEP_2) | instskip(NEXT) | instid1(VALU_DEP_1)
	v_lshlrev_b64 v[3:4], 1, v[0:1]
	v_add_co_u32 v7, vcc_lo, s9, v3
	s_delay_alu instid0(VALU_DEP_2)
	v_add_co_ci_u32_e32 v8, vcc_lo, s10, v4, vcc_lo
	v_add_co_u32 v3, vcc_lo, s4, v3
	v_add_co_ci_u32_e32 v4, vcc_lo, s5, v4, vcc_lo
	global_load_u16 v1, v[7:8], off
	global_load_u16 v3, v[3:4], off
	s_waitcnt vmcnt(1)
	v_lshlrev_b32_e32 v1, 16, v1
	s_waitcnt vmcnt(0)
	v_lshlrev_b32_e32 v3, 16, v3
	s_waitcnt lgkmcnt(0)
	s_delay_alu instid0(VALU_DEP_2) | instskip(NEXT) | instid1(VALU_DEP_1)
	v_mul_f32_e32 v1, v5, v1
	v_bfe_u32 v4, v1, 16, 1
	s_delay_alu instid0(VALU_DEP_1) | instskip(NEXT) | instid1(VALU_DEP_1)
	v_add3_u32 v4, v1, v4, 0x7fff
	v_and_b32_e32 v4, 0xffff0000, v4
	v_cmp_o_f32_e32 vcc_lo, v1, v1
	s_delay_alu instid0(VALU_DEP_2) | instskip(NEXT) | instid1(VALU_DEP_1)
	v_cndmask_b32_e32 v1, 0x7fc00000, v4, vcc_lo
	v_mul_f32_e32 v1, v1, v3
	s_delay_alu instid0(VALU_DEP_1) | instskip(SKIP_1) | instid1(VALU_DEP_2)
	v_bfe_u32 v3, v1, 16, 1
	v_cmp_o_f32_e32 vcc_lo, v1, v1
	v_add3_u32 v3, v1, v3, 0x7fff
	s_delay_alu instid0(VALU_DEP_1) | instskip(NEXT) | instid1(VALU_DEP_1)
	v_and_b32_e32 v3, 0xffff0000, v3
	v_cndmask_b32_e32 v1, 0x7fc00000, v3, vcc_lo
	s_delay_alu instid0(VALU_DEP_1) | instskip(NEXT) | instid1(VALU_DEP_1)
	v_mul_f32_e32 v1, v6, v1
	v_minmax_f32 v3, v1, s7, 0xc3e00000
	s_delay_alu instid0(VALU_DEP_1) | instskip(SKIP_2) | instid1(VALU_DEP_3)
	v_lshrrev_b32_e32 v8, 24, v3
	v_and_b32_e32 v9, 0x7f800000, v3
	v_and_b32_e32 v1, 0x7fffff, v3
	;; [unrolled: 1-line block ×3, first 2 shown]
	s_delay_alu instid0(VALU_DEP_1) | instskip(NEXT) | instid1(VALU_DEP_4)
	v_or_b32_e32 v4, 0x7e, v7
	v_cmpx_ne_u64_e32 0x7f800000, v[9:10]
	s_xor_b32 s12, exec_lo, s0
	s_cbranch_execz .LBB24_35
; %bb.22:                               ;   in Loop: Header=BB24_21 Depth=1
	v_dual_mov_b32 v9, v2 :: v_dual_and_b32 v8, 0x7fffffff, v3
	s_mov_b32 s0, exec_lo
	s_delay_alu instid0(VALU_DEP_1)
	v_cmpx_gt_u64_e32 0x43e00001, v[8:9]
	s_xor_b32 s13, exec_lo, s0
	s_cbranch_execz .LBB24_34
; %bb.23:                               ;   in Loop: Header=BB24_21 Depth=1
	v_mov_b32_e32 v4, 0
	s_mov_b32 s14, exec_lo
	v_cmpx_ne_u32_e32 0, v3
	s_cbranch_execz .LBB24_33
; %bb.24:                               ;   in Loop: Header=BB24_21 Depth=1
	v_bfe_u32 v12, v3, 23, 8
	s_delay_alu instid0(VALU_DEP_1) | instskip(SKIP_2) | instid1(VALU_DEP_3)
	v_sub_nc_u32_e64 v3, 0x79, v12 clamp
	v_cmp_eq_u32_e32 vcc_lo, 0, v12
	v_add_nc_u32_e32 v12, 0xffffff88, v12
	v_cndmask_b32_e64 v13, v3, 0x78, vcc_lo
	v_or_b32_e32 v3, 0x800000, v1
	s_delay_alu instid0(VALU_DEP_2) | instskip(NEXT) | instid1(VALU_DEP_2)
	v_add_nc_u32_e32 v4, 20, v13
	v_cndmask_b32_e32 v1, v3, v1, vcc_lo
	v_add_nc_u32_e32 v8, 19, v13
	s_delay_alu instid0(VALU_DEP_3) | instskip(NEXT) | instid1(VALU_DEP_3)
	v_lshlrev_b64 v[3:4], v4, -1
	v_lshrrev_b64 v[10:11], v13, v[1:2]
	s_delay_alu instid0(VALU_DEP_2) | instskip(NEXT) | instid1(VALU_DEP_3)
	v_not_b32_e32 v9, v4
	v_not_b32_e32 v14, v3
	v_lshlrev_b64 v[3:4], v8, 1
	s_delay_alu instid0(VALU_DEP_3) | instskip(NEXT) | instid1(VALU_DEP_3)
	v_and_b32_e32 v9, 0, v9
	v_and_b32_e32 v8, v1, v14
	;; [unrolled: 1-line block ×3, first 2 shown]
	s_delay_alu instid0(VALU_DEP_2) | instskip(NEXT) | instid1(VALU_DEP_2)
	v_cmp_eq_u64_e64 s0, v[8:9], v[3:4]
	v_cmp_eq_u64_e64 s1, 0, v[1:2]
	v_cndmask_b32_e64 v1, v12, 0xffffff89, vcc_lo
	v_lshrrev_b32_e32 v3, 23, v10
	s_delay_alu instid0(VALU_DEP_3) | instskip(NEXT) | instid1(VALU_DEP_1)
	s_and_b32 vcc_lo, s1, s0
	v_add3_u32 v8, v1, v13, v3
	v_subrev_co_ci_u32_e32 v4, vcc_lo, 0, v10, vcc_lo
	s_mov_b32 s0, exec_lo
	s_delay_alu instid0(VALU_DEP_2) | instskip(NEXT) | instid1(VALU_DEP_2)
	v_add_nc_u32_e32 v9, -1, v8
	v_and_b32_e32 v1, 0xfffff, v4
	s_delay_alu instid0(VALU_DEP_1) | instskip(SKIP_1) | instid1(VALU_DEP_4)
	v_add_co_u32 v3, vcc_lo, v1, v10
	v_add_co_ci_u32_e32 v4, vcc_lo, 0, v11, vcc_lo
                                        ; implicit-def: $vgpr1
	v_cmpx_ne_u32_e32 0, v9
	s_xor_b32 s0, exec_lo, s0
; %bb.25:                               ;   in Loop: Header=BB24_21 Depth=1
	s_delay_alu instid0(VALU_DEP_3) | instskip(SKIP_1) | instid1(VALU_DEP_2)
	v_and_b32_e32 v1, 0x1000000, v3
	v_bfe_u32 v10, v3, 24, 1
	v_cmp_eq_u64_e32 vcc_lo, 0, v[1:2]
	s_delay_alu instid0(VALU_DEP_2)
	v_lshrrev_b64 v[3:4], v10, v[3:4]
	v_cndmask_b32_e32 v1, v8, v9, vcc_lo
; %bb.26:                               ;   in Loop: Header=BB24_21 Depth=1
	s_and_not1_saveexec_b32 s0, s0
; %bb.27:                               ;   in Loop: Header=BB24_21 Depth=1
	s_delay_alu instid0(VALU_DEP_2)
	v_bfe_u32 v1, v3, 23, 1
; %bb.28:                               ;   in Loop: Header=BB24_21 Depth=1
	s_or_b32 exec_lo, exec_lo, s0
	s_delay_alu instid0(VALU_DEP_3) | instskip(NEXT) | instid1(VALU_DEP_2)
	v_lshrrev_b64 v[3:4], 20, v[3:4]
	v_cmp_gt_i32_e32 vcc_lo, 16, v1
	v_cmp_ne_u32_e64 s0, 0, v1
	s_delay_alu instid0(VALU_DEP_3) | instskip(NEXT) | instid1(VALU_DEP_1)
	v_dual_cndmask_b32 v4, 0, v4 :: v_dual_cndmask_b32 v3, 7, v3
	v_cmp_ne_u64_e32 vcc_lo, 0, v[3:4]
                                        ; implicit-def: $vgpr4
	s_delay_alu instid0(VALU_DEP_3) | instskip(NEXT) | instid1(SALU_CYCLE_1)
	s_or_b32 s0, s0, vcc_lo
	s_and_saveexec_b32 s1, s0
	s_delay_alu instid0(SALU_CYCLE_1)
	s_xor_b32 s0, exec_lo, s1
; %bb.29:                               ;   in Loop: Header=BB24_21 Depth=1
	v_min_i32_e32 v1, 15, v1
	s_delay_alu instid0(VALU_DEP_1) | instskip(NEXT) | instid1(VALU_DEP_1)
	v_lshl_or_b32 v1, v1, 3, v7
                                        ; implicit-def: $vgpr7
	v_and_or_b32 v4, v3, 7, v1
; %bb.30:                               ;   in Loop: Header=BB24_21 Depth=1
	s_and_not1_saveexec_b32 s0, s0
; %bb.31:                               ;   in Loop: Header=BB24_21 Depth=1
	v_mov_b32_e32 v4, v7
; %bb.32:                               ;   in Loop: Header=BB24_21 Depth=1
	s_or_b32 exec_lo, exec_lo, s0
.LBB24_33:                              ;   in Loop: Header=BB24_21 Depth=1
	s_delay_alu instid0(SALU_CYCLE_1)
	s_or_b32 exec_lo, exec_lo, s14
.LBB24_34:                              ;   in Loop: Header=BB24_21 Depth=1
	s_and_not1_saveexec_b32 s0, s13
	s_delay_alu instid0(SALU_CYCLE_1)
	s_or_b32 exec_lo, exec_lo, s0
                                        ; implicit-def: $vgpr8
.LBB24_35:                              ;   in Loop: Header=BB24_21 Depth=1
	s_and_not1_saveexec_b32 s0, s12
	s_cbranch_execz .LBB24_20
; %bb.36:                               ;   in Loop: Header=BB24_21 Depth=1
	v_cmp_eq_u64_e32 vcc_lo, 0, v[1:2]
	v_or_b32_e32 v3, 0x7f, v8
	s_delay_alu instid0(VALU_DEP_1)
	v_cndmask_b32_e32 v4, v3, v4, vcc_lo
	s_branch .LBB24_20
.LBB24_37:
	s_nop 0
	s_sendmsg sendmsg(MSG_DEALLOC_VGPRS)
	s_endpgm
	.section	.rodata,"a",@progbits
	.p2align	6, 0x0
	.amdhsa_kernel _ZN4vllm32rms_norm_static_fp8_quant_kernelIN3c108BFloat16ENS1_13Float8_e4m3fnELi1EEEvPT0_PKT_iS8_PKffii
		.amdhsa_group_segment_fixed_size 132
		.amdhsa_private_segment_fixed_size 0
		.amdhsa_kernarg_size 312
		.amdhsa_user_sgpr_count 15
		.amdhsa_user_sgpr_dispatch_ptr 0
		.amdhsa_user_sgpr_queue_ptr 0
		.amdhsa_user_sgpr_kernarg_segment_ptr 1
		.amdhsa_user_sgpr_dispatch_id 0
		.amdhsa_user_sgpr_private_segment_size 0
		.amdhsa_wavefront_size32 1
		.amdhsa_uses_dynamic_stack 0
		.amdhsa_enable_private_segment 0
		.amdhsa_system_sgpr_workgroup_id_x 1
		.amdhsa_system_sgpr_workgroup_id_y 0
		.amdhsa_system_sgpr_workgroup_id_z 0
		.amdhsa_system_sgpr_workgroup_info 0
		.amdhsa_system_vgpr_workitem_id 0
		.amdhsa_next_free_vgpr 15
		.amdhsa_next_free_sgpr 17
		.amdhsa_reserve_vcc 1
		.amdhsa_float_round_mode_32 0
		.amdhsa_float_round_mode_16_64 0
		.amdhsa_float_denorm_mode_32 3
		.amdhsa_float_denorm_mode_16_64 3
		.amdhsa_dx10_clamp 1
		.amdhsa_ieee_mode 1
		.amdhsa_fp16_overflow 0
		.amdhsa_workgroup_processor_mode 1
		.amdhsa_memory_ordered 1
		.amdhsa_forward_progress 0
		.amdhsa_shared_vgpr_count 0
		.amdhsa_exception_fp_ieee_invalid_op 0
		.amdhsa_exception_fp_denorm_src 0
		.amdhsa_exception_fp_ieee_div_zero 0
		.amdhsa_exception_fp_ieee_overflow 0
		.amdhsa_exception_fp_ieee_underflow 0
		.amdhsa_exception_fp_ieee_inexact 0
		.amdhsa_exception_int_div_zero 0
	.end_amdhsa_kernel
	.section	.text._ZN4vllm32rms_norm_static_fp8_quant_kernelIN3c108BFloat16ENS1_13Float8_e4m3fnELi1EEEvPT0_PKT_iS8_PKffii,"axG",@progbits,_ZN4vllm32rms_norm_static_fp8_quant_kernelIN3c108BFloat16ENS1_13Float8_e4m3fnELi1EEEvPT0_PKT_iS8_PKffii,comdat
.Lfunc_end24:
	.size	_ZN4vllm32rms_norm_static_fp8_quant_kernelIN3c108BFloat16ENS1_13Float8_e4m3fnELi1EEEvPT0_PKT_iS8_PKffii, .Lfunc_end24-_ZN4vllm32rms_norm_static_fp8_quant_kernelIN3c108BFloat16ENS1_13Float8_e4m3fnELi1EEEvPT0_PKT_iS8_PKffii
                                        ; -- End function
	.section	.AMDGPU.csdata,"",@progbits
; Kernel info:
; codeLenInByte = 2180
; NumSgprs: 19
; NumVgprs: 15
; ScratchSize: 0
; MemoryBound: 0
; FloatMode: 240
; IeeeMode: 1
; LDSByteSize: 132 bytes/workgroup (compile time only)
; SGPRBlocks: 2
; VGPRBlocks: 1
; NumSGPRsForWavesPerEU: 19
; NumVGPRsForWavesPerEU: 15
; Occupancy: 16
; WaveLimiterHint : 0
; COMPUTE_PGM_RSRC2:SCRATCH_EN: 0
; COMPUTE_PGM_RSRC2:USER_SGPR: 15
; COMPUTE_PGM_RSRC2:TRAP_HANDLER: 0
; COMPUTE_PGM_RSRC2:TGID_X_EN: 1
; COMPUTE_PGM_RSRC2:TGID_Y_EN: 0
; COMPUTE_PGM_RSRC2:TGID_Z_EN: 0
; COMPUTE_PGM_RSRC2:TIDIG_COMP_CNT: 0
	.section	.text._ZN4vllm32rms_norm_static_fp8_quant_kernelIN3c108BFloat16ENS1_15Float8_e4m3fnuzELi16EEEvPT0_PKT_iS8_PKffii,"axG",@progbits,_ZN4vllm32rms_norm_static_fp8_quant_kernelIN3c108BFloat16ENS1_15Float8_e4m3fnuzELi16EEEvPT0_PKT_iS8_PKffii,comdat
	.protected	_ZN4vllm32rms_norm_static_fp8_quant_kernelIN3c108BFloat16ENS1_15Float8_e4m3fnuzELi16EEEvPT0_PKT_iS8_PKffii ; -- Begin function _ZN4vllm32rms_norm_static_fp8_quant_kernelIN3c108BFloat16ENS1_15Float8_e4m3fnuzELi16EEEvPT0_PKT_iS8_PKffii
	.globl	_ZN4vllm32rms_norm_static_fp8_quant_kernelIN3c108BFloat16ENS1_15Float8_e4m3fnuzELi16EEEvPT0_PKT_iS8_PKffii
	.p2align	8
	.type	_ZN4vllm32rms_norm_static_fp8_quant_kernelIN3c108BFloat16ENS1_15Float8_e4m3fnuzELi16EEEvPT0_PKT_iS8_PKffii,@function
_ZN4vllm32rms_norm_static_fp8_quant_kernelIN3c108BFloat16ENS1_15Float8_e4m3fnuzELi16EEEvPT0_PKT_iS8_PKffii: ; @_ZN4vllm32rms_norm_static_fp8_quant_kernelIN3c108BFloat16ENS1_15Float8_e4m3fnuzELi16EEEvPT0_PKT_iS8_PKffii
; %bb.0:
	s_clause 0x3
	s_load_b32 s2, s[0:1], 0x10
	s_load_b64 s[4:5], s[0:1], 0x8
	s_load_b32 s8, s[0:1], 0x44
	s_load_b32 s13, s[0:1], 0x30
	s_mov_b32 s3, 0
	s_waitcnt lgkmcnt(0)
	s_mul_i32 s2, s15, s2
	s_delay_alu instid0(SALU_CYCLE_1) | instskip(NEXT) | instid1(SALU_CYCLE_1)
	s_lshl_b64 s[6:7], s[2:3], 1
	s_add_u32 s10, s4, s6
	s_addc_u32 s11, s5, s7
	s_and_b32 s2, s10, 31
	s_and_b32 s12, s8, 0xffff
	s_cmp_lg_u64 s[2:3], 0
	s_cselect_b32 s2, -1, 0
	s_and_b32 s3, s13, 15
	s_delay_alu instid0(SALU_CYCLE_1) | instskip(SKIP_1) | instid1(SALU_CYCLE_1)
	s_cmp_lg_u32 s3, 0
	s_cselect_b32 s3, -1, 0
	s_or_b32 s2, s2, s3
	s_delay_alu instid0(SALU_CYCLE_1)
	s_and_b32 vcc_lo, exec_lo, s2
	s_cbranch_vccz .LBB25_14
; %bb.1:
	s_sub_i32 s2, 0, s10
	v_mov_b32_e32 v4, 0
	s_bfe_u32 s2, s2, 0x40001
	s_mov_b32 s3, exec_lo
	s_min_i32 s8, s2, s13
	s_delay_alu instid0(SALU_CYCLE_1)
	v_cmpx_gt_i32_e64 s8, v0
	s_cbranch_execz .LBB25_5
; %bb.2:
	v_dual_mov_b32 v4, 0 :: v_dual_lshlrev_b32 v1, 1, v0
	s_add_u32 s2, s4, s6
	s_addc_u32 s9, s5, s7
	v_mov_b32_e32 v3, v0
	s_delay_alu instid0(VALU_DEP_2) | instskip(NEXT) | instid1(VALU_DEP_1)
	v_add_co_u32 v1, s2, s2, v1
	v_add_co_ci_u32_e64 v2, null, s9, 0, s2
	s_mov_b32 s9, 0
	s_lshl_b32 s14, s12, 1
.LBB25_3:                               ; =>This Inner Loop Header: Depth=1
	global_load_u16 v5, v[1:2], off
	v_add_co_u32 v1, vcc_lo, v1, s14
	v_add_co_ci_u32_e32 v2, vcc_lo, 0, v2, vcc_lo
	s_waitcnt vmcnt(0)
	v_lshlrev_b32_e32 v5, 16, v5
	s_delay_alu instid0(VALU_DEP_1) | instskip(NEXT) | instid1(VALU_DEP_1)
	v_dual_fmac_f32 v4, v5, v5 :: v_dual_add_nc_u32 v3, s12, v3
	v_cmp_le_i32_e64 s2, s8, v3
	s_delay_alu instid0(VALU_DEP_1) | instskip(NEXT) | instid1(SALU_CYCLE_1)
	s_or_b32 s9, s2, s9
	s_and_not1_b32 exec_lo, exec_lo, s9
	s_cbranch_execnz .LBB25_3
; %bb.4:
	s_or_b32 exec_lo, exec_lo, s9
.LBB25_5:
	s_delay_alu instid0(SALU_CYCLE_1)
	s_or_b32 exec_lo, exec_lo, s3
	s_sub_i32 s3, s13, s8
	s_ashr_i32 s9, s8, 31
	s_ashr_i32 s2, s3, 31
	s_mov_b32 s16, exec_lo
	s_lshr_b32 s2, s2, 28
	s_delay_alu instid0(SALU_CYCLE_1) | instskip(NEXT) | instid1(SALU_CYCLE_1)
	s_add_i32 s2, s3, s2
	s_ashr_i32 s14, s2, 4
	s_delay_alu instid0(SALU_CYCLE_1)
	v_cmpx_gt_i32_e64 s14, v0
	s_cbranch_execz .LBB25_9
; %bb.6:
	v_lshlrev_b32_e32 v1, 5, v0
	s_lshl_b64 s[18:19], s[8:9], 1
	s_add_u32 s2, s4, s6
	s_addc_u32 s17, s5, s7
	s_add_u32 s2, s2, s18
	s_addc_u32 s17, s17, s19
	v_add_co_u32 v1, s2, s2, v1
	s_delay_alu instid0(VALU_DEP_1)
	v_add_co_ci_u32_e64 v2, null, s17, 0, s2
	v_mov_b32_e32 v3, v0
	s_mov_b32 s17, 0
	s_lshl_b32 s18, s12, 5
.LBB25_7:                               ; =>This Inner Loop Header: Depth=1
	s_clause 0x1
	global_load_b128 v[5:8], v[1:2], off
	global_load_b128 v[9:12], v[1:2], off offset:16
	v_add_co_u32 v1, vcc_lo, v1, s18
	v_add_co_ci_u32_e32 v2, vcc_lo, 0, v2, vcc_lo
	v_add_nc_u32_e32 v3, s12, v3
	s_delay_alu instid0(VALU_DEP_1) | instskip(NEXT) | instid1(VALU_DEP_1)
	v_cmp_le_i32_e64 s2, s14, v3
	s_or_b32 s17, s2, s17
	s_waitcnt vmcnt(1)
	v_lshlrev_b32_e32 v13, 16, v5
	v_and_b32_e32 v5, 0xffff0000, v5
	s_delay_alu instid0(VALU_DEP_2) | instskip(NEXT) | instid1(VALU_DEP_1)
	v_dual_fmac_f32 v4, v13, v13 :: v_dual_lshlrev_b32 v13, 16, v6
	v_dual_fmac_f32 v4, v5, v5 :: v_dual_and_b32 v5, 0xffff0000, v6
	v_lshlrev_b32_e32 v6, 16, v7
	s_delay_alu instid0(VALU_DEP_2) | instskip(NEXT) | instid1(VALU_DEP_1)
	v_fmac_f32_e32 v4, v13, v13
	v_dual_fmac_f32 v4, v5, v5 :: v_dual_and_b32 v5, 0xffff0000, v7
	s_delay_alu instid0(VALU_DEP_1) | instskip(SKIP_1) | instid1(VALU_DEP_2)
	v_fmac_f32_e32 v4, v6, v6
	v_lshlrev_b32_e32 v6, 16, v8
	v_dual_fmac_f32 v4, v5, v5 :: v_dual_and_b32 v5, 0xffff0000, v8
	s_delay_alu instid0(VALU_DEP_1) | instskip(SKIP_2) | instid1(VALU_DEP_2)
	v_fmac_f32_e32 v4, v6, v6
	s_waitcnt vmcnt(0)
	v_lshlrev_b32_e32 v6, 16, v9
	v_fmac_f32_e32 v4, v5, v5
	s_delay_alu instid0(VALU_DEP_1) | instskip(SKIP_1) | instid1(VALU_DEP_2)
	v_dual_fmac_f32 v4, v6, v6 :: v_dual_and_b32 v5, 0xffff0000, v9
	v_lshlrev_b32_e32 v6, 16, v10
	v_dual_fmac_f32 v4, v5, v5 :: v_dual_and_b32 v5, 0xffff0000, v10
	s_delay_alu instid0(VALU_DEP_1) | instskip(SKIP_1) | instid1(VALU_DEP_2)
	v_fmac_f32_e32 v4, v6, v6
	v_lshlrev_b32_e32 v6, 16, v11
	v_dual_fmac_f32 v4, v5, v5 :: v_dual_and_b32 v5, 0xffff0000, v11
	s_delay_alu instid0(VALU_DEP_1) | instskip(SKIP_1) | instid1(VALU_DEP_2)
	v_fmac_f32_e32 v4, v6, v6
	v_lshlrev_b32_e32 v6, 16, v12
	v_dual_fmac_f32 v4, v5, v5 :: v_dual_and_b32 v5, 0xffff0000, v12
	s_delay_alu instid0(VALU_DEP_1) | instskip(NEXT) | instid1(VALU_DEP_1)
	v_fmac_f32_e32 v4, v6, v6
	v_fmac_f32_e32 v4, v5, v5
	s_and_not1_b32 exec_lo, exec_lo, s17
	s_cbranch_execnz .LBB25_7
; %bb.8:
	s_or_b32 exec_lo, exec_lo, s17
.LBB25_9:
	s_delay_alu instid0(SALU_CYCLE_1) | instskip(SKIP_2) | instid1(VALU_DEP_1)
	s_or_b32 exec_lo, exec_lo, s16
	v_lshl_add_u32 v1, s14, 4, v0
	s_mov_b32 s14, exec_lo
	v_cmpx_gt_i32_e64 s3, v1
	s_cbranch_execz .LBB25_13
; %bb.10:
	v_ashrrev_i32_e32 v2, 31, v1
	s_lshl_b64 s[8:9], s[8:9], 1
	s_add_u32 s2, s4, s6
	s_addc_u32 s16, s5, s7
	s_add_u32 s2, s2, s8
	v_lshlrev_b64 v[2:3], 1, v[1:2]
	s_addc_u32 s8, s16, s9
	s_lshl_b32 s9, s12, 1
	s_delay_alu instid0(VALU_DEP_1) | instskip(NEXT) | instid1(VALU_DEP_2)
	v_add_co_u32 v2, vcc_lo, s2, v2
	v_add_co_ci_u32_e32 v3, vcc_lo, s8, v3, vcc_lo
	s_mov_b32 s8, 0
.LBB25_11:                              ; =>This Inner Loop Header: Depth=1
	global_load_u16 v5, v[2:3], off
	v_add_nc_u32_e32 v1, s12, v1
	v_add_co_u32 v2, vcc_lo, v2, s9
	v_add_co_ci_u32_e32 v3, vcc_lo, 0, v3, vcc_lo
	s_delay_alu instid0(VALU_DEP_3) | instskip(NEXT) | instid1(VALU_DEP_1)
	v_cmp_le_i32_e64 s2, s3, v1
	s_or_b32 s8, s2, s8
	s_waitcnt vmcnt(0)
	v_lshlrev_b32_e32 v5, 16, v5
	s_delay_alu instid0(VALU_DEP_1)
	v_fmac_f32_e32 v4, v5, v5
	s_and_not1_b32 exec_lo, exec_lo, s8
	s_cbranch_execnz .LBB25_11
; %bb.12:
	s_or_b32 exec_lo, exec_lo, s8
.LBB25_13:
	s_delay_alu instid0(SALU_CYCLE_1)
	s_or_b32 exec_lo, exec_lo, s14
	s_branch .LBB25_20
.LBB25_14:
                                        ; implicit-def: $vgpr4
	s_cbranch_execz .LBB25_20
; %bb.15:
	v_mov_b32_e32 v4, 0
	s_ashr_i32 s8, s13, 4
	s_mov_b32 s3, exec_lo
	v_cmpx_gt_i32_e64 s8, v0
	s_cbranch_execz .LBB25_19
; %bb.16:
	v_dual_mov_b32 v4, 0 :: v_dual_lshlrev_b32 v1, 5, v0
	s_add_u32 s2, s4, s6
	s_addc_u32 s4, s5, s7
	v_mov_b32_e32 v3, v0
	s_delay_alu instid0(VALU_DEP_2) | instskip(NEXT) | instid1(VALU_DEP_1)
	v_add_co_u32 v1, s2, s2, v1
	v_add_co_ci_u32_e64 v2, null, s4, 0, s2
	s_mov_b32 s4, 0
	s_lshl_b32 s5, s12, 5
.LBB25_17:                              ; =>This Inner Loop Header: Depth=1
	s_clause 0x1
	global_load_b128 v[5:8], v[1:2], off
	global_load_b128 v[9:12], v[1:2], off offset:16
	v_add_co_u32 v1, vcc_lo, v1, s5
	v_add_co_ci_u32_e32 v2, vcc_lo, 0, v2, vcc_lo
	v_add_nc_u32_e32 v3, s12, v3
	s_delay_alu instid0(VALU_DEP_1) | instskip(NEXT) | instid1(VALU_DEP_1)
	v_cmp_le_i32_e64 s2, s8, v3
	s_or_b32 s4, s2, s4
	s_waitcnt vmcnt(1)
	v_lshlrev_b32_e32 v13, 16, v5
	v_and_b32_e32 v5, 0xffff0000, v5
	s_delay_alu instid0(VALU_DEP_2) | instskip(NEXT) | instid1(VALU_DEP_1)
	v_dual_fmac_f32 v4, v13, v13 :: v_dual_lshlrev_b32 v13, 16, v6
	v_dual_fmac_f32 v4, v5, v5 :: v_dual_and_b32 v5, 0xffff0000, v6
	v_lshlrev_b32_e32 v6, 16, v7
	s_delay_alu instid0(VALU_DEP_2) | instskip(NEXT) | instid1(VALU_DEP_1)
	v_fmac_f32_e32 v4, v13, v13
	v_dual_fmac_f32 v4, v5, v5 :: v_dual_and_b32 v5, 0xffff0000, v7
	s_delay_alu instid0(VALU_DEP_1) | instskip(SKIP_1) | instid1(VALU_DEP_2)
	v_fmac_f32_e32 v4, v6, v6
	v_lshlrev_b32_e32 v6, 16, v8
	v_dual_fmac_f32 v4, v5, v5 :: v_dual_and_b32 v5, 0xffff0000, v8
	s_delay_alu instid0(VALU_DEP_1) | instskip(SKIP_2) | instid1(VALU_DEP_2)
	v_fmac_f32_e32 v4, v6, v6
	s_waitcnt vmcnt(0)
	v_lshlrev_b32_e32 v6, 16, v9
	v_fmac_f32_e32 v4, v5, v5
	s_delay_alu instid0(VALU_DEP_1) | instskip(SKIP_1) | instid1(VALU_DEP_2)
	v_dual_fmac_f32 v4, v6, v6 :: v_dual_and_b32 v5, 0xffff0000, v9
	v_lshlrev_b32_e32 v6, 16, v10
	v_dual_fmac_f32 v4, v5, v5 :: v_dual_and_b32 v5, 0xffff0000, v10
	s_delay_alu instid0(VALU_DEP_1) | instskip(SKIP_1) | instid1(VALU_DEP_2)
	v_fmac_f32_e32 v4, v6, v6
	v_lshlrev_b32_e32 v6, 16, v11
	v_dual_fmac_f32 v4, v5, v5 :: v_dual_and_b32 v5, 0xffff0000, v11
	s_delay_alu instid0(VALU_DEP_1) | instskip(SKIP_1) | instid1(VALU_DEP_2)
	v_fmac_f32_e32 v4, v6, v6
	v_lshlrev_b32_e32 v6, 16, v12
	v_dual_fmac_f32 v4, v5, v5 :: v_dual_and_b32 v5, 0xffff0000, v12
	s_delay_alu instid0(VALU_DEP_1) | instskip(NEXT) | instid1(VALU_DEP_1)
	v_fmac_f32_e32 v4, v6, v6
	v_fmac_f32_e32 v4, v5, v5
	s_and_not1_b32 exec_lo, exec_lo, s4
	s_cbranch_execnz .LBB25_17
; %bb.18:
	s_or_b32 exec_lo, exec_lo, s4
.LBB25_19:
	s_delay_alu instid0(SALU_CYCLE_1)
	s_or_b32 exec_lo, exec_lo, s3
.LBB25_20:
	v_mbcnt_lo_u32_b32 v1, -1, 0
	v_and_b32_e32 v3, 0x3e0, v0
	s_mov_b32 s2, exec_lo
	s_delay_alu instid0(VALU_DEP_2) | instskip(NEXT) | instid1(VALU_DEP_2)
	v_cmp_ne_u32_e32 vcc_lo, 31, v1
	v_sub_nc_u32_e64 v12, s12, v3 clamp
	v_add_nc_u32_e32 v3, 1, v1
	v_add_co_ci_u32_e32 v2, vcc_lo, 0, v1, vcc_lo
	v_cmp_gt_u32_e32 vcc_lo, 30, v1
	s_delay_alu instid0(VALU_DEP_2)
	v_lshlrev_b32_e32 v2, 2, v2
	v_cndmask_b32_e64 v6, 0, 1, vcc_lo
	v_cmp_lt_u32_e32 vcc_lo, v3, v12
	ds_bpermute_b32 v5, v2, v4
	s_waitcnt lgkmcnt(0)
	v_dual_add_f32 v7, v4, v5 :: v_dual_lshlrev_b32 v6, 1, v6
	s_delay_alu instid0(VALU_DEP_1) | instskip(NEXT) | instid1(VALU_DEP_2)
	v_cndmask_b32_e32 v7, v4, v7, vcc_lo
	v_add_lshl_u32 v5, v6, v1, 2
	v_cmp_gt_u32_e32 vcc_lo, 28, v1
	ds_bpermute_b32 v6, v5, v7
	v_cndmask_b32_e64 v4, 0, 1, vcc_lo
	s_delay_alu instid0(VALU_DEP_1) | instskip(SKIP_1) | instid1(VALU_DEP_1)
	v_lshlrev_b32_e32 v8, 2, v4
	v_add_nc_u32_e32 v4, 2, v1
	v_cmp_lt_u32_e32 vcc_lo, v4, v12
	s_waitcnt lgkmcnt(0)
	v_add_f32_e32 v9, v7, v6
	v_add_lshl_u32 v6, v8, v1, 2
	s_delay_alu instid0(VALU_DEP_2) | instskip(SKIP_2) | instid1(VALU_DEP_1)
	v_cndmask_b32_e32 v9, v7, v9, vcc_lo
	v_cmp_gt_u32_e32 vcc_lo, 24, v1
	v_cndmask_b32_e64 v7, 0, 1, vcc_lo
	v_lshlrev_b32_e32 v10, 3, v7
	ds_bpermute_b32 v8, v6, v9
	v_add_nc_u32_e32 v7, 4, v1
	s_delay_alu instid0(VALU_DEP_1) | instskip(SKIP_3) | instid1(VALU_DEP_2)
	v_cmp_lt_u32_e32 vcc_lo, v7, v12
	s_waitcnt lgkmcnt(0)
	v_add_f32_e32 v11, v9, v8
	v_add_lshl_u32 v8, v10, v1, 2
	v_cndmask_b32_e32 v11, v9, v11, vcc_lo
	v_cmp_gt_u32_e32 vcc_lo, 16, v1
	ds_bpermute_b32 v10, v8, v11
	v_cndmask_b32_e64 v9, 0, 1, vcc_lo
	s_delay_alu instid0(VALU_DEP_1) | instskip(SKIP_1) | instid1(VALU_DEP_1)
	v_lshlrev_b32_e32 v13, 4, v9
	v_add_nc_u32_e32 v9, 8, v1
	v_cmp_lt_u32_e32 vcc_lo, v9, v12
	s_waitcnt lgkmcnt(0)
	v_add_f32_e32 v14, v11, v10
	v_add_lshl_u32 v10, v13, v1, 2
	s_delay_alu instid0(VALU_DEP_2)
	v_cndmask_b32_e32 v13, v11, v14, vcc_lo
	v_add_nc_u32_e32 v11, 16, v1
	ds_bpermute_b32 v14, v10, v13
	v_cmp_lt_u32_e32 vcc_lo, v11, v12
	s_waitcnt lgkmcnt(0)
	v_add_f32_e32 v14, v13, v14
	s_delay_alu instid0(VALU_DEP_1)
	v_cndmask_b32_e32 v12, v13, v14, vcc_lo
	v_cmpx_eq_u32_e32 0, v1
	s_cbranch_execz .LBB25_22
; %bb.21:
	v_lshrrev_b32_e32 v13, 3, v0
	s_delay_alu instid0(VALU_DEP_1)
	v_and_b32_e32 v13, 0x7c, v13
	ds_store_b32 v13, v12
.LBB25_22:
	s_or_b32 exec_lo, exec_lo, s2
	s_delay_alu instid0(SALU_CYCLE_1)
	s_mov_b32 s2, exec_lo
	s_waitcnt lgkmcnt(0)
	s_barrier
	buffer_gl0_inv
	v_cmpx_gt_u32_e32 32, v0
	s_cbranch_execz .LBB25_24
; %bb.23:
	v_lshlrev_b32_e32 v1, 2, v1
	s_add_i32 s3, s12, 31
	s_delay_alu instid0(SALU_CYCLE_1) | instskip(NEXT) | instid1(SALU_CYCLE_1)
	s_lshr_b32 s3, s3, 5
	v_cmp_gt_u32_e32 vcc_lo, s3, v3
	ds_load_b32 v1, v1
	s_waitcnt lgkmcnt(0)
	ds_bpermute_b32 v2, v2, v1
	s_waitcnt lgkmcnt(0)
	v_add_f32_e32 v2, v1, v2
	s_delay_alu instid0(VALU_DEP_1) | instskip(SKIP_4) | instid1(VALU_DEP_1)
	v_cndmask_b32_e32 v1, v1, v2, vcc_lo
	v_cmp_gt_u32_e32 vcc_lo, s3, v4
	ds_bpermute_b32 v2, v5, v1
	s_waitcnt lgkmcnt(0)
	v_add_f32_e32 v2, v1, v2
	v_cndmask_b32_e32 v1, v1, v2, vcc_lo
	v_cmp_gt_u32_e32 vcc_lo, s3, v7
	ds_bpermute_b32 v2, v6, v1
	s_waitcnt lgkmcnt(0)
	v_add_f32_e32 v2, v1, v2
	s_delay_alu instid0(VALU_DEP_1) | instskip(SKIP_4) | instid1(VALU_DEP_1)
	v_cndmask_b32_e32 v1, v1, v2, vcc_lo
	v_cmp_gt_u32_e32 vcc_lo, s3, v9
	ds_bpermute_b32 v2, v8, v1
	s_waitcnt lgkmcnt(0)
	v_add_f32_e32 v2, v1, v2
	v_cndmask_b32_e32 v1, v1, v2, vcc_lo
	v_cmp_gt_u32_e32 vcc_lo, s3, v11
	ds_bpermute_b32 v2, v10, v1
	s_waitcnt lgkmcnt(0)
	v_add_f32_e32 v2, v1, v2
	s_delay_alu instid0(VALU_DEP_1)
	v_cndmask_b32_e32 v12, v1, v2, vcc_lo
.LBB25_24:
	s_or_b32 exec_lo, exec_lo, s2
	s_delay_alu instid0(SALU_CYCLE_1)
	s_mov_b32 s2, exec_lo
	v_cmpx_eq_u32_e32 0, v0
	s_cbranch_execz .LBB25_26
; %bb.25:
	v_cvt_f32_i32_e32 v1, s13
	s_load_b32 s3, s[0:1], 0x28
	s_delay_alu instid0(VALU_DEP_1) | instskip(SKIP_1) | instid1(VALU_DEP_2)
	v_div_scale_f32 v2, null, v1, v1, v12
	v_div_scale_f32 v5, vcc_lo, v12, v1, v12
	v_rcp_f32_e32 v3, v2
	s_waitcnt_depctr 0xfff
	v_fma_f32 v4, -v2, v3, 1.0
	s_delay_alu instid0(VALU_DEP_1) | instskip(NEXT) | instid1(VALU_DEP_1)
	v_fmac_f32_e32 v3, v4, v3
	v_mul_f32_e32 v4, v5, v3
	s_delay_alu instid0(VALU_DEP_1) | instskip(NEXT) | instid1(VALU_DEP_1)
	v_fma_f32 v6, -v2, v4, v5
	v_fmac_f32_e32 v4, v6, v3
	s_delay_alu instid0(VALU_DEP_1) | instskip(NEXT) | instid1(VALU_DEP_1)
	v_fma_f32 v2, -v2, v4, v5
	v_div_fmas_f32 v2, v2, v3, v4
	s_delay_alu instid0(VALU_DEP_1) | instskip(SKIP_1) | instid1(VALU_DEP_1)
	v_div_fixup_f32 v1, v2, v1, v12
	s_waitcnt lgkmcnt(0)
	v_add_f32_e32 v1, s3, v1
	s_delay_alu instid0(VALU_DEP_1) | instskip(SKIP_1) | instid1(VALU_DEP_2)
	v_mul_f32_e32 v2, 0x4b800000, v1
	v_cmp_gt_f32_e32 vcc_lo, 0x800000, v1
	v_cndmask_b32_e32 v1, v1, v2, vcc_lo
	s_delay_alu instid0(VALU_DEP_1) | instskip(SKIP_2) | instid1(VALU_DEP_1)
	v_rsq_f32_e32 v1, v1
	s_waitcnt_depctr 0xfff
	v_mul_f32_e32 v2, 0x45800000, v1
	v_dual_cndmask_b32 v1, v1, v2 :: v_dual_mov_b32 v2, 0
	ds_store_b32 v2, v1 offset:128
.LBB25_26:
	s_or_b32 exec_lo, exec_lo, s2
	s_ashr_i32 s2, s13, 31
	s_waitcnt lgkmcnt(0)
	s_lshr_b32 s2, s2, 28
	s_barrier
	s_add_i32 s2, s13, s2
	buffer_gl0_inv
	s_ashr_i32 s8, s2, 4
	s_mov_b32 s2, exec_lo
	v_cmpx_gt_i32_e64 s8, v0
	s_cbranch_execz .LBB25_189
; %bb.27:
	s_clause 0x1
	s_load_b128 s[4:7], s[0:1], 0x18
	s_load_b64 s[2:3], s[0:1], 0x0
	s_mul_i32 s15, s15, s13
	s_lshl_b32 s9, s12, 5
	v_lshl_add_u32 v22, v0, 4, s15
	s_mov_b32 s13, 0x43600000
	v_mov_b32_e32 v18, 0
	v_lshlrev_b32_e32 v24, 5, v0
	ds_load_b32 v21, v18 offset:128
	s_waitcnt lgkmcnt(0)
	s_load_b32 s7, s[6:7], 0x0
	s_lshl_b32 s6, s12, 4
	s_waitcnt lgkmcnt(0)
	v_div_scale_f32 v1, null, s7, s7, 1.0
	v_div_scale_f32 v4, vcc_lo, 1.0, s7, 1.0
	s_delay_alu instid0(VALU_DEP_2) | instskip(SKIP_2) | instid1(VALU_DEP_1)
	v_rcp_f32_e32 v2, v1
	s_waitcnt_depctr 0xfff
	v_fma_f32 v3, -v1, v2, 1.0
	v_fmac_f32_e32 v2, v3, v2
	s_delay_alu instid0(VALU_DEP_1) | instskip(NEXT) | instid1(VALU_DEP_1)
	v_mul_f32_e32 v3, v4, v2
	v_fma_f32 v5, -v1, v3, v4
	s_delay_alu instid0(VALU_DEP_1) | instskip(NEXT) | instid1(VALU_DEP_1)
	v_fmac_f32_e32 v3, v5, v2
	v_fma_f32 v1, -v1, v3, v4
	s_delay_alu instid0(VALU_DEP_1) | instskip(NEXT) | instid1(VALU_DEP_1)
	v_div_fmas_f32 v1, v1, v2, v3
	v_div_fixup_f32 v23, v1, s7, 1.0
	s_mov_b32 s7, 0
	s_branch .LBB25_32
.LBB25_28:                              ;   in Loop: Header=BB25_32 Depth=1
	s_or_b32 exec_lo, exec_lo, s0
	s_delay_alu instid0(VALU_DEP_2) | instskip(NEXT) | instid1(VALU_DEP_2)
	v_lshrrev_b64 v[1:2], 20, v[1:2]
	v_cmp_gt_i32_e32 vcc_lo, 16, v4
	v_and_b32_e32 v3, 0x80, v3
	v_min_i32_e32 v5, 15, v4
	v_cmp_eq_u32_e64 s0, 0, v4
	v_dual_cndmask_b32 v2, 0, v2 :: v_dual_cndmask_b32 v1, 7, v1
	s_delay_alu instid0(VALU_DEP_3) | instskip(NEXT) | instid1(VALU_DEP_2)
	v_lshl_or_b32 v3, v5, 3, v3
	v_cmp_eq_u64_e32 vcc_lo, 0, v[1:2]
	s_delay_alu instid0(VALU_DEP_2)
	v_and_or_b32 v1, v1, 7, v3
	s_and_b32 s0, s0, vcc_lo
	s_delay_alu instid0(VALU_DEP_1) | instid1(SALU_CYCLE_1)
	v_cndmask_b32_e64 v1, v1, 0, s0
.LBB25_29:                              ;   in Loop: Header=BB25_32 Depth=1
	s_or_b32 exec_lo, exec_lo, s16
.LBB25_30:                              ;   in Loop: Header=BB25_32 Depth=1
	s_and_not1_saveexec_b32 s0, s15
	s_delay_alu instid0(SALU_CYCLE_1)
	s_or_b32 exec_lo, exec_lo, s0
.LBB25_31:                              ;   in Loop: Header=BB25_32 Depth=1
	s_and_not1_saveexec_b32 s0, s14
	s_delay_alu instid0(SALU_CYCLE_1)
	s_or_b32 exec_lo, exec_lo, s0
	v_add_nc_u32_e32 v0, s12, v0
	s_add_u32 s4, s4, s9
	v_add_nc_u32_e32 v2, 15, v22
	v_add_nc_u32_e32 v22, s6, v22
	s_addc_u32 s5, s5, 0
	v_cmp_le_i32_e32 vcc_lo, s8, v0
	s_add_u32 s10, s10, s9
	s_addc_u32 s11, s11, 0
	global_store_b8 v2, v1, s[2:3]
	s_or_b32 s7, vcc_lo, s7
	s_delay_alu instid0(SALU_CYCLE_1)
	s_and_not1_b32 exec_lo, exec_lo, s7
	s_cbranch_execz .LBB25_189
.LBB25_32:                              ; =>This Inner Loop Header: Depth=1
	v_add_co_u32 v1, s0, s10, v24
	s_delay_alu instid0(VALU_DEP_1) | instskip(SKIP_1) | instid1(VALU_DEP_1)
	v_add_co_ci_u32_e64 v2, null, s11, 0, s0
	v_add_co_u32 v3, s0, s4, v24
	v_add_co_ci_u32_e64 v4, null, s5, 0, s0
	global_load_b128 v[13:16], v[1:2], off
	global_load_b128 v[9:12], v[3:4], off
	global_load_b128 v[5:8], v[1:2], off offset:16
	global_load_b128 v[1:4], v[3:4], off offset:16
	s_mov_b32 s0, exec_lo
	s_waitcnt vmcnt(3)
	v_lshlrev_b32_e32 v17, 16, v13
	s_delay_alu instid0(VALU_DEP_1) | instskip(NEXT) | instid1(VALU_DEP_1)
	v_mul_f32_e32 v17, v21, v17
	v_bfe_u32 v19, v17, 16, 1
	v_cmp_o_f32_e32 vcc_lo, v17, v17
	s_delay_alu instid0(VALU_DEP_2) | instskip(NEXT) | instid1(VALU_DEP_1)
	v_add3_u32 v19, v17, v19, 0x7fff
	v_and_b32_e32 v19, 0xffff0000, v19
	s_delay_alu instid0(VALU_DEP_1) | instskip(SKIP_2) | instid1(VALU_DEP_1)
	v_cndmask_b32_e32 v17, 0x7fc00000, v19, vcc_lo
	s_waitcnt vmcnt(2)
	v_lshlrev_b32_e32 v19, 16, v9
	v_mul_f32_e32 v17, v17, v19
	s_delay_alu instid0(VALU_DEP_1) | instskip(SKIP_1) | instid1(VALU_DEP_2)
	v_bfe_u32 v19, v17, 16, 1
	v_cmp_o_f32_e32 vcc_lo, v17, v17
	v_add3_u32 v19, v17, v19, 0x7fff
	s_delay_alu instid0(VALU_DEP_1) | instskip(NEXT) | instid1(VALU_DEP_1)
	v_and_b32_e32 v19, 0xffff0000, v19
	v_cndmask_b32_e32 v17, 0x7fc00000, v19, vcc_lo
	s_delay_alu instid0(VALU_DEP_1) | instskip(NEXT) | instid1(VALU_DEP_1)
	v_mul_f32_e32 v17, v23, v17
	v_minmax_f32 v20, v17, s13, 0xc3600000
	s_delay_alu instid0(VALU_DEP_1) | instskip(SKIP_1) | instid1(VALU_DEP_2)
	v_lshrrev_b32_e32 v25, 24, v20
	v_and_b32_e32 v17, 0x7f800000, v20
	v_or_b32_e32 v19, 0x7f, v25
	s_delay_alu instid0(VALU_DEP_2)
	v_cmpx_ne_u64_e32 0x7f800000, v[17:18]
	s_xor_b32 s14, exec_lo, s0
	s_cbranch_execz .LBB25_42
; %bb.33:                               ;   in Loop: Header=BB25_32 Depth=1
	v_and_b32_e32 v17, 0x7fffffff, v20
	s_mov_b32 s0, exec_lo
	s_delay_alu instid0(VALU_DEP_1)
	v_cmpx_gt_u64_e32 0x43700001, v[17:18]
	s_xor_b32 s15, exec_lo, s0
	s_cbranch_execz .LBB25_41
; %bb.34:                               ;   in Loop: Header=BB25_32 Depth=1
	v_mov_b32_e32 v19, 0
	s_mov_b32 s16, exec_lo
	v_cmpx_ne_u32_e32 0, v20
	s_cbranch_execz .LBB25_40
; %bb.35:                               ;   in Loop: Header=BB25_32 Depth=1
	v_bfe_u32 v30, v20, 23, 8
	v_and_b32_e32 v19, 0x7fffff, v20
	s_delay_alu instid0(VALU_DEP_2) | instskip(SKIP_2) | instid1(VALU_DEP_3)
	v_sub_nc_u32_e64 v17, 0x78, v30 clamp
	v_cmp_eq_u32_e32 vcc_lo, 0, v30
	v_add_nc_u32_e32 v30, 0xffffff89, v30
	v_cndmask_b32_e64 v31, v17, 0x77, vcc_lo
	v_or_b32_e32 v17, 0x800000, v19
	s_delay_alu instid0(VALU_DEP_2) | instskip(NEXT) | instid1(VALU_DEP_2)
	v_add_nc_u32_e32 v20, 20, v31
	v_cndmask_b32_e32 v17, v17, v19, vcc_lo
	v_add_nc_u32_e32 v26, 19, v31
	s_delay_alu instid0(VALU_DEP_3) | instskip(NEXT) | instid1(VALU_DEP_3)
	v_lshlrev_b64 v[19:20], v20, -1
	v_lshrrev_b64 v[28:29], v31, v[17:18]
	s_delay_alu instid0(VALU_DEP_3) | instskip(SKIP_1) | instid1(VALU_DEP_4)
	v_lshlrev_b64 v[26:27], v26, 1
	v_mov_b32_e32 v20, v18
	v_not_b32_e32 v19, v19
	s_delay_alu instid0(VALU_DEP_1) | instskip(SKIP_1) | instid1(VALU_DEP_2)
	v_and_b32_e32 v19, v17, v19
	v_and_b32_e32 v17, 0x100000, v28
	v_cmp_eq_u64_e64 s0, v[19:20], v[26:27]
	s_delay_alu instid0(VALU_DEP_2) | instskip(SKIP_2) | instid1(VALU_DEP_3)
	v_cmp_eq_u64_e64 s1, 0, v[17:18]
	v_cndmask_b32_e64 v17, v30, 0xffffff8a, vcc_lo
	v_lshrrev_b32_e32 v19, 23, v28
	s_and_b32 vcc_lo, s1, s0
	s_delay_alu instid0(VALU_DEP_1) | instskip(SKIP_2) | instid1(VALU_DEP_2)
	v_add3_u32 v26, v17, v31, v19
	v_subrev_co_ci_u32_e32 v20, vcc_lo, 0, v28, vcc_lo
	s_mov_b32 s0, exec_lo
	v_add_nc_u32_e32 v27, -1, v26
	s_delay_alu instid0(VALU_DEP_2) | instskip(NEXT) | instid1(VALU_DEP_1)
	v_and_b32_e32 v17, 0xfffff, v20
	v_add_co_u32 v19, vcc_lo, v17, v28
	v_add_co_ci_u32_e32 v20, vcc_lo, 0, v29, vcc_lo
                                        ; implicit-def: $vgpr17
	s_delay_alu instid0(VALU_DEP_4)
	v_cmpx_ne_u32_e32 0, v27
	s_xor_b32 s0, exec_lo, s0
; %bb.36:                               ;   in Loop: Header=BB25_32 Depth=1
	s_delay_alu instid0(VALU_DEP_3) | instskip(SKIP_1) | instid1(VALU_DEP_2)
	v_and_b32_e32 v17, 0x1000000, v19
	v_bfe_u32 v28, v19, 24, 1
	v_cmp_eq_u64_e32 vcc_lo, 0, v[17:18]
	s_delay_alu instid0(VALU_DEP_2)
	v_lshrrev_b64 v[19:20], v28, v[19:20]
	v_cndmask_b32_e32 v17, v26, v27, vcc_lo
; %bb.37:                               ;   in Loop: Header=BB25_32 Depth=1
	s_and_not1_saveexec_b32 s0, s0
; %bb.38:                               ;   in Loop: Header=BB25_32 Depth=1
	s_delay_alu instid0(VALU_DEP_2)
	v_bfe_u32 v17, v19, 23, 1
; %bb.39:                               ;   in Loop: Header=BB25_32 Depth=1
	s_or_b32 exec_lo, exec_lo, s0
	s_delay_alu instid0(VALU_DEP_3) | instskip(NEXT) | instid1(VALU_DEP_2)
	v_lshrrev_b64 v[19:20], 20, v[19:20]
	v_cmp_gt_i32_e32 vcc_lo, 16, v17
	v_and_b32_e32 v25, 0x80, v25
	v_min_i32_e32 v26, 15, v17
	v_cmp_eq_u32_e64 s0, 0, v17
	v_dual_cndmask_b32 v20, 0, v20 :: v_dual_cndmask_b32 v19, 7, v19
	s_delay_alu instid0(VALU_DEP_3) | instskip(NEXT) | instid1(VALU_DEP_2)
	v_lshl_or_b32 v25, v26, 3, v25
	v_cmp_eq_u64_e32 vcc_lo, 0, v[19:20]
	s_delay_alu instid0(VALU_DEP_2)
	v_and_or_b32 v17, v19, 7, v25
	s_and_b32 s0, s0, vcc_lo
	s_delay_alu instid0(VALU_DEP_1) | instid1(SALU_CYCLE_1)
	v_cndmask_b32_e64 v19, v17, 0, s0
.LBB25_40:                              ;   in Loop: Header=BB25_32 Depth=1
	s_or_b32 exec_lo, exec_lo, s16
.LBB25_41:                              ;   in Loop: Header=BB25_32 Depth=1
	s_and_not1_saveexec_b32 s0, s15
	s_delay_alu instid0(SALU_CYCLE_1)
	s_or_b32 exec_lo, exec_lo, s0
.LBB25_42:                              ;   in Loop: Header=BB25_32 Depth=1
	s_and_not1_saveexec_b32 s0, s14
	s_delay_alu instid0(SALU_CYCLE_1)
	s_or_b32 exec_lo, exec_lo, s0
	v_and_b32_e32 v13, 0xffff0000, v13
	v_and_b32_e32 v9, 0xffff0000, v9
	global_store_b8 v22, v19, s[2:3]
	s_mov_b32 s0, exec_lo
	v_mul_f32_e32 v13, v21, v13
	s_delay_alu instid0(VALU_DEP_1) | instskip(SKIP_1) | instid1(VALU_DEP_2)
	v_bfe_u32 v17, v13, 16, 1
	v_cmp_o_f32_e32 vcc_lo, v13, v13
	v_add3_u32 v17, v13, v17, 0x7fff
	s_delay_alu instid0(VALU_DEP_1) | instskip(NEXT) | instid1(VALU_DEP_1)
	v_and_b32_e32 v17, 0xffff0000, v17
	v_cndmask_b32_e32 v13, 0x7fc00000, v17, vcc_lo
	s_delay_alu instid0(VALU_DEP_1) | instskip(NEXT) | instid1(VALU_DEP_1)
	v_mul_f32_e32 v9, v13, v9
	v_bfe_u32 v13, v9, 16, 1
	v_cmp_o_f32_e32 vcc_lo, v9, v9
	s_delay_alu instid0(VALU_DEP_2) | instskip(NEXT) | instid1(VALU_DEP_1)
	v_add3_u32 v13, v9, v13, 0x7fff
	v_and_b32_e32 v13, 0xffff0000, v13
	s_delay_alu instid0(VALU_DEP_1) | instskip(NEXT) | instid1(VALU_DEP_1)
	v_cndmask_b32_e32 v9, 0x7fc00000, v13, vcc_lo
	v_mul_f32_e32 v9, v23, v9
	s_delay_alu instid0(VALU_DEP_1) | instskip(NEXT) | instid1(VALU_DEP_1)
	v_minmax_f32 v20, v9, s13, 0xc3600000
	v_lshrrev_b32_e32 v9, 24, v20
	v_and_b32_e32 v17, 0x7f800000, v20
	s_delay_alu instid0(VALU_DEP_2) | instskip(NEXT) | instid1(VALU_DEP_2)
	v_or_b32_e32 v13, 0x7f, v9
	v_cmpx_ne_u64_e32 0x7f800000, v[17:18]
	s_xor_b32 s14, exec_lo, s0
	s_cbranch_execz .LBB25_52
; %bb.43:                               ;   in Loop: Header=BB25_32 Depth=1
	v_and_b32_e32 v17, 0x7fffffff, v20
	s_mov_b32 s0, exec_lo
	s_delay_alu instid0(VALU_DEP_1)
	v_cmpx_gt_u64_e32 0x43700001, v[17:18]
	s_xor_b32 s15, exec_lo, s0
	s_cbranch_execz .LBB25_51
; %bb.44:                               ;   in Loop: Header=BB25_32 Depth=1
	v_mov_b32_e32 v13, 0
	s_mov_b32 s16, exec_lo
	v_cmpx_ne_u32_e32 0, v20
	s_cbranch_execz .LBB25_50
; %bb.45:                               ;   in Loop: Header=BB25_32 Depth=1
	v_bfe_u32 v13, v20, 23, 8
	v_and_b32_e32 v19, 0x7fffff, v20
	s_delay_alu instid0(VALU_DEP_2) | instskip(SKIP_2) | instid1(VALU_DEP_3)
	v_sub_nc_u32_e64 v17, 0x78, v13 clamp
	v_cmp_eq_u32_e32 vcc_lo, 0, v13
	v_add_nc_u32_e32 v13, 0xffffff89, v13
	v_cndmask_b32_e64 v29, v17, 0x77, vcc_lo
	v_or_b32_e32 v17, 0x800000, v19
	s_delay_alu instid0(VALU_DEP_3) | instskip(NEXT) | instid1(VALU_DEP_2)
	v_cndmask_b32_e64 v13, v13, 0xffffff8a, vcc_lo
	v_dual_cndmask_b32 v17, v17, v19 :: v_dual_add_nc_u32 v20, 20, v29
	v_add_nc_u32_e32 v25, 19, v29
	s_delay_alu instid0(VALU_DEP_2) | instskip(NEXT) | instid1(VALU_DEP_3)
	v_lshlrev_b64 v[19:20], v20, -1
	v_lshrrev_b64 v[27:28], v29, v[17:18]
	s_delay_alu instid0(VALU_DEP_3) | instskip(SKIP_1) | instid1(VALU_DEP_4)
	v_lshlrev_b64 v[25:26], v25, 1
	v_mov_b32_e32 v20, v18
	v_not_b32_e32 v19, v19
	s_delay_alu instid0(VALU_DEP_1) | instskip(SKIP_1) | instid1(VALU_DEP_2)
	v_and_b32_e32 v19, v17, v19
	v_and_b32_e32 v17, 0x100000, v27
	v_cmp_eq_u64_e64 s0, v[19:20], v[25:26]
	s_delay_alu instid0(VALU_DEP_2) | instskip(SKIP_1) | instid1(VALU_DEP_1)
	v_cmp_eq_u64_e64 s1, 0, v[17:18]
	v_lshrrev_b32_e32 v17, 23, v27
	v_add3_u32 v25, v13, v29, v17
	s_delay_alu instid0(VALU_DEP_3) | instskip(SKIP_2) | instid1(VALU_DEP_2)
	s_and_b32 vcc_lo, s1, s0
	s_mov_b32 s0, exec_lo
	v_subrev_co_ci_u32_e32 v19, vcc_lo, 0, v27, vcc_lo
	v_add_nc_u32_e32 v26, -1, v25
	s_delay_alu instid0(VALU_DEP_2) | instskip(NEXT) | instid1(VALU_DEP_1)
	v_and_b32_e32 v13, 0xfffff, v19
	v_add_co_u32 v19, vcc_lo, v13, v27
	v_add_co_ci_u32_e32 v20, vcc_lo, 0, v28, vcc_lo
                                        ; implicit-def: $vgpr13
	s_delay_alu instid0(VALU_DEP_4)
	v_cmpx_ne_u32_e32 0, v26
	s_xor_b32 s0, exec_lo, s0
; %bb.46:                               ;   in Loop: Header=BB25_32 Depth=1
	s_delay_alu instid0(VALU_DEP_3) | instskip(SKIP_1) | instid1(VALU_DEP_2)
	v_and_b32_e32 v17, 0x1000000, v19
	v_bfe_u32 v13, v19, 24, 1
	v_cmp_eq_u64_e32 vcc_lo, 0, v[17:18]
	s_delay_alu instid0(VALU_DEP_2)
	v_lshrrev_b64 v[19:20], v13, v[19:20]
	v_cndmask_b32_e32 v13, v25, v26, vcc_lo
; %bb.47:                               ;   in Loop: Header=BB25_32 Depth=1
	s_and_not1_saveexec_b32 s0, s0
; %bb.48:                               ;   in Loop: Header=BB25_32 Depth=1
	s_delay_alu instid0(VALU_DEP_2)
	v_bfe_u32 v13, v19, 23, 1
; %bb.49:                               ;   in Loop: Header=BB25_32 Depth=1
	s_or_b32 exec_lo, exec_lo, s0
	s_delay_alu instid0(VALU_DEP_3) | instskip(NEXT) | instid1(VALU_DEP_2)
	v_lshrrev_b64 v[19:20], 20, v[19:20]
	v_cmp_gt_i32_e32 vcc_lo, 16, v13
	v_and_b32_e32 v9, 0x80, v9
	v_min_i32_e32 v17, 15, v13
	v_cmp_eq_u32_e64 s0, 0, v13
	v_dual_cndmask_b32 v20, 0, v20 :: v_dual_cndmask_b32 v19, 7, v19
	s_delay_alu instid0(VALU_DEP_3) | instskip(NEXT) | instid1(VALU_DEP_2)
	v_lshl_or_b32 v9, v17, 3, v9
	v_cmp_eq_u64_e32 vcc_lo, 0, v[19:20]
	s_delay_alu instid0(VALU_DEP_2)
	v_and_or_b32 v9, v19, 7, v9
	s_and_b32 s0, s0, vcc_lo
	s_delay_alu instid0(VALU_DEP_1) | instid1(SALU_CYCLE_1)
	v_cndmask_b32_e64 v13, v9, 0, s0
.LBB25_50:                              ;   in Loop: Header=BB25_32 Depth=1
	s_or_b32 exec_lo, exec_lo, s16
.LBB25_51:                              ;   in Loop: Header=BB25_32 Depth=1
	s_and_not1_saveexec_b32 s0, s15
	s_delay_alu instid0(SALU_CYCLE_1)
	s_or_b32 exec_lo, exec_lo, s0
.LBB25_52:                              ;   in Loop: Header=BB25_32 Depth=1
	s_and_not1_saveexec_b32 s0, s14
	s_delay_alu instid0(SALU_CYCLE_1) | instskip(SKIP_3) | instid1(VALU_DEP_2)
	s_or_b32 exec_lo, exec_lo, s0
	v_lshlrev_b32_e32 v9, 16, v14
	v_add_nc_u32_e32 v25, 1, v22
	s_mov_b32 s0, exec_lo
	v_mul_f32_e32 v9, v21, v9
	global_store_b8 v25, v13, s[2:3]
	v_bfe_u32 v17, v9, 16, 1
	v_cmp_o_f32_e32 vcc_lo, v9, v9
	s_delay_alu instid0(VALU_DEP_2) | instskip(NEXT) | instid1(VALU_DEP_1)
	v_add3_u32 v17, v9, v17, 0x7fff
	v_and_b32_e32 v17, 0xffff0000, v17
	s_delay_alu instid0(VALU_DEP_1) | instskip(SKIP_1) | instid1(VALU_DEP_1)
	v_cndmask_b32_e32 v9, 0x7fc00000, v17, vcc_lo
	v_lshlrev_b32_e32 v17, 16, v10
	v_mul_f32_e32 v9, v9, v17
	s_delay_alu instid0(VALU_DEP_1) | instskip(SKIP_1) | instid1(VALU_DEP_2)
	v_bfe_u32 v17, v9, 16, 1
	v_cmp_o_f32_e32 vcc_lo, v9, v9
	v_add3_u32 v17, v9, v17, 0x7fff
	s_delay_alu instid0(VALU_DEP_1) | instskip(NEXT) | instid1(VALU_DEP_1)
	v_and_b32_e32 v17, 0xffff0000, v17
	v_cndmask_b32_e32 v9, 0x7fc00000, v17, vcc_lo
	s_delay_alu instid0(VALU_DEP_1) | instskip(NEXT) | instid1(VALU_DEP_1)
	v_mul_f32_e32 v9, v23, v9
	v_minmax_f32 v20, v9, s13, 0xc3600000
	s_delay_alu instid0(VALU_DEP_1) | instskip(SKIP_1) | instid1(VALU_DEP_2)
	v_lshrrev_b32_e32 v9, 24, v20
	v_and_b32_e32 v17, 0x7f800000, v20
	v_or_b32_e32 v19, 0x7f, v9
	s_delay_alu instid0(VALU_DEP_2)
	v_cmpx_ne_u64_e32 0x7f800000, v[17:18]
	s_xor_b32 s14, exec_lo, s0
	s_cbranch_execz .LBB25_62
; %bb.53:                               ;   in Loop: Header=BB25_32 Depth=1
	v_and_b32_e32 v17, 0x7fffffff, v20
	s_mov_b32 s0, exec_lo
	s_delay_alu instid0(VALU_DEP_1)
	v_cmpx_gt_u64_e32 0x43700001, v[17:18]
	s_xor_b32 s15, exec_lo, s0
	s_cbranch_execz .LBB25_61
; %bb.54:                               ;   in Loop: Header=BB25_32 Depth=1
	v_mov_b32_e32 v19, 0
	s_mov_b32 s16, exec_lo
	v_cmpx_ne_u32_e32 0, v20
	s_cbranch_execz .LBB25_60
; %bb.55:                               ;   in Loop: Header=BB25_32 Depth=1
	v_bfe_u32 v13, v20, 23, 8
	v_and_b32_e32 v19, 0x7fffff, v20
	s_delay_alu instid0(VALU_DEP_2) | instskip(SKIP_2) | instid1(VALU_DEP_3)
	v_sub_nc_u32_e64 v17, 0x78, v13 clamp
	v_cmp_eq_u32_e32 vcc_lo, 0, v13
	v_add_nc_u32_e32 v13, 0xffffff89, v13
	v_cndmask_b32_e64 v29, v17, 0x77, vcc_lo
	v_or_b32_e32 v17, 0x800000, v19
	s_delay_alu instid0(VALU_DEP_3) | instskip(NEXT) | instid1(VALU_DEP_2)
	v_cndmask_b32_e64 v13, v13, 0xffffff8a, vcc_lo
	v_dual_cndmask_b32 v17, v17, v19 :: v_dual_add_nc_u32 v20, 20, v29
	v_add_nc_u32_e32 v25, 19, v29
	s_delay_alu instid0(VALU_DEP_2) | instskip(NEXT) | instid1(VALU_DEP_3)
	v_lshlrev_b64 v[19:20], v20, -1
	v_lshrrev_b64 v[27:28], v29, v[17:18]
	s_delay_alu instid0(VALU_DEP_3) | instskip(SKIP_1) | instid1(VALU_DEP_4)
	v_lshlrev_b64 v[25:26], v25, 1
	v_mov_b32_e32 v20, v18
	v_not_b32_e32 v19, v19
	s_delay_alu instid0(VALU_DEP_1) | instskip(SKIP_1) | instid1(VALU_DEP_2)
	v_and_b32_e32 v19, v17, v19
	v_and_b32_e32 v17, 0x100000, v27
	v_cmp_eq_u64_e64 s0, v[19:20], v[25:26]
	s_delay_alu instid0(VALU_DEP_2) | instskip(SKIP_1) | instid1(VALU_DEP_1)
	v_cmp_eq_u64_e64 s1, 0, v[17:18]
	v_lshrrev_b32_e32 v17, 23, v27
	v_add3_u32 v25, v13, v29, v17
	s_delay_alu instid0(VALU_DEP_3) | instskip(SKIP_2) | instid1(VALU_DEP_2)
	s_and_b32 vcc_lo, s1, s0
	s_mov_b32 s0, exec_lo
	v_subrev_co_ci_u32_e32 v19, vcc_lo, 0, v27, vcc_lo
	v_add_nc_u32_e32 v26, -1, v25
	s_delay_alu instid0(VALU_DEP_2) | instskip(NEXT) | instid1(VALU_DEP_1)
	v_and_b32_e32 v13, 0xfffff, v19
	v_add_co_u32 v19, vcc_lo, v13, v27
	v_add_co_ci_u32_e32 v20, vcc_lo, 0, v28, vcc_lo
                                        ; implicit-def: $vgpr13
	s_delay_alu instid0(VALU_DEP_4)
	v_cmpx_ne_u32_e32 0, v26
	s_xor_b32 s0, exec_lo, s0
; %bb.56:                               ;   in Loop: Header=BB25_32 Depth=1
	s_delay_alu instid0(VALU_DEP_3) | instskip(SKIP_1) | instid1(VALU_DEP_2)
	v_and_b32_e32 v17, 0x1000000, v19
	v_bfe_u32 v13, v19, 24, 1
	v_cmp_eq_u64_e32 vcc_lo, 0, v[17:18]
	s_delay_alu instid0(VALU_DEP_2)
	v_lshrrev_b64 v[19:20], v13, v[19:20]
	v_cndmask_b32_e32 v13, v25, v26, vcc_lo
; %bb.57:                               ;   in Loop: Header=BB25_32 Depth=1
	s_and_not1_saveexec_b32 s0, s0
; %bb.58:                               ;   in Loop: Header=BB25_32 Depth=1
	s_delay_alu instid0(VALU_DEP_2)
	v_bfe_u32 v13, v19, 23, 1
; %bb.59:                               ;   in Loop: Header=BB25_32 Depth=1
	s_or_b32 exec_lo, exec_lo, s0
	s_delay_alu instid0(VALU_DEP_3) | instskip(NEXT) | instid1(VALU_DEP_2)
	v_lshrrev_b64 v[19:20], 20, v[19:20]
	v_cmp_gt_i32_e32 vcc_lo, 16, v13
	v_and_b32_e32 v9, 0x80, v9
	v_min_i32_e32 v17, 15, v13
	v_cmp_eq_u32_e64 s0, 0, v13
	v_dual_cndmask_b32 v20, 0, v20 :: v_dual_cndmask_b32 v19, 7, v19
	s_delay_alu instid0(VALU_DEP_3) | instskip(NEXT) | instid1(VALU_DEP_2)
	v_lshl_or_b32 v9, v17, 3, v9
	v_cmp_eq_u64_e32 vcc_lo, 0, v[19:20]
	s_delay_alu instid0(VALU_DEP_2)
	v_and_or_b32 v9, v19, 7, v9
	s_and_b32 s0, s0, vcc_lo
	s_delay_alu instid0(VALU_DEP_1) | instid1(SALU_CYCLE_1)
	v_cndmask_b32_e64 v19, v9, 0, s0
.LBB25_60:                              ;   in Loop: Header=BB25_32 Depth=1
	s_or_b32 exec_lo, exec_lo, s16
.LBB25_61:                              ;   in Loop: Header=BB25_32 Depth=1
	s_and_not1_saveexec_b32 s0, s15
	s_delay_alu instid0(SALU_CYCLE_1)
	s_or_b32 exec_lo, exec_lo, s0
.LBB25_62:                              ;   in Loop: Header=BB25_32 Depth=1
	s_and_not1_saveexec_b32 s0, s14
	s_delay_alu instid0(SALU_CYCLE_1) | instskip(SKIP_3) | instid1(VALU_DEP_2)
	s_or_b32 exec_lo, exec_lo, s0
	v_and_b32_e32 v9, 0xffff0000, v14
	s_mov_b32 s0, exec_lo
	v_and_b32_e32 v10, 0xffff0000, v10
	v_dual_mul_f32 v9, v21, v9 :: v_dual_add_nc_u32 v14, 2, v22
	global_store_b8 v14, v19, s[2:3]
	v_bfe_u32 v13, v9, 16, 1
	v_cmp_o_f32_e32 vcc_lo, v9, v9
	s_delay_alu instid0(VALU_DEP_2) | instskip(NEXT) | instid1(VALU_DEP_1)
	v_add3_u32 v13, v9, v13, 0x7fff
	v_and_b32_e32 v13, 0xffff0000, v13
	s_delay_alu instid0(VALU_DEP_1) | instskip(NEXT) | instid1(VALU_DEP_1)
	v_cndmask_b32_e32 v9, 0x7fc00000, v13, vcc_lo
	v_mul_f32_e32 v9, v9, v10
	s_delay_alu instid0(VALU_DEP_1) | instskip(SKIP_1) | instid1(VALU_DEP_2)
	v_bfe_u32 v10, v9, 16, 1
	v_cmp_o_f32_e32 vcc_lo, v9, v9
	v_add3_u32 v10, v9, v10, 0x7fff
	s_delay_alu instid0(VALU_DEP_1) | instskip(NEXT) | instid1(VALU_DEP_1)
	v_and_b32_e32 v10, 0xffff0000, v10
	v_cndmask_b32_e32 v9, 0x7fc00000, v10, vcc_lo
	s_delay_alu instid0(VALU_DEP_1) | instskip(NEXT) | instid1(VALU_DEP_1)
	v_mul_f32_e32 v9, v23, v9
	v_minmax_f32 v10, v9, s13, 0xc3600000
	s_delay_alu instid0(VALU_DEP_1) | instskip(SKIP_1) | instid1(VALU_DEP_2)
	v_lshrrev_b32_e32 v13, 24, v10
	v_and_b32_e32 v17, 0x7f800000, v10
	v_or_b32_e32 v9, 0x7f, v13
	s_delay_alu instid0(VALU_DEP_2)
	v_cmpx_ne_u64_e32 0x7f800000, v[17:18]
	s_xor_b32 s14, exec_lo, s0
	s_cbranch_execz .LBB25_72
; %bb.63:                               ;   in Loop: Header=BB25_32 Depth=1
	v_and_b32_e32 v17, 0x7fffffff, v10
	s_mov_b32 s0, exec_lo
	s_delay_alu instid0(VALU_DEP_1)
	v_cmpx_gt_u64_e32 0x43700001, v[17:18]
	s_xor_b32 s15, exec_lo, s0
	s_cbranch_execz .LBB25_71
; %bb.64:                               ;   in Loop: Header=BB25_32 Depth=1
	v_mov_b32_e32 v9, 0
	s_mov_b32 s16, exec_lo
	v_cmpx_ne_u32_e32 0, v10
	s_cbranch_execz .LBB25_70
; %bb.65:                               ;   in Loop: Header=BB25_32 Depth=1
	v_bfe_u32 v14, v10, 23, 8
	v_and_b32_e32 v10, 0x7fffff, v10
	s_delay_alu instid0(VALU_DEP_2) | instskip(SKIP_2) | instid1(VALU_DEP_3)
	v_sub_nc_u32_e64 v9, 0x78, v14 clamp
	v_cmp_eq_u32_e32 vcc_lo, 0, v14
	v_add_nc_u32_e32 v14, 0xffffff89, v14
	v_cndmask_b32_e64 v27, v9, 0x77, vcc_lo
	v_or_b32_e32 v9, 0x800000, v10
	s_delay_alu instid0(VALU_DEP_2) | instskip(NEXT) | instid1(VALU_DEP_2)
	v_add_nc_u32_e32 v19, 20, v27
	v_cndmask_b32_e32 v17, v9, v10, vcc_lo
	s_delay_alu instid0(VALU_DEP_2) | instskip(SKIP_1) | instid1(VALU_DEP_3)
	v_lshlrev_b64 v[9:10], v19, -1
	v_add_nc_u32_e32 v19, 19, v27
	v_lshrrev_b64 v[25:26], v27, v[17:18]
	v_mov_b32_e32 v10, v18
	s_delay_alu instid0(VALU_DEP_3) | instskip(SKIP_1) | instid1(VALU_DEP_1)
	v_lshlrev_b64 v[19:20], v19, 1
	v_not_b32_e32 v9, v9
	v_and_b32_e32 v9, v17, v9
	v_and_b32_e32 v17, 0x100000, v25
	s_delay_alu instid0(VALU_DEP_2) | instskip(NEXT) | instid1(VALU_DEP_2)
	v_cmp_eq_u64_e64 s0, v[9:10], v[19:20]
	v_cmp_eq_u64_e64 s1, 0, v[17:18]
	v_cndmask_b32_e64 v9, v14, 0xffffff8a, vcc_lo
	v_lshrrev_b32_e32 v10, 23, v25
	s_delay_alu instid0(VALU_DEP_3) | instskip(NEXT) | instid1(VALU_DEP_1)
	s_and_b32 vcc_lo, s1, s0
	v_add3_u32 v19, v9, v27, v10
	v_subrev_co_ci_u32_e32 v14, vcc_lo, 0, v25, vcc_lo
	s_mov_b32 s0, exec_lo
	s_delay_alu instid0(VALU_DEP_2) | instskip(NEXT) | instid1(VALU_DEP_2)
	v_add_nc_u32_e32 v20, -1, v19
	v_and_b32_e32 v9, 0xfffff, v14
                                        ; implicit-def: $vgpr14
	s_delay_alu instid0(VALU_DEP_1) | instskip(SKIP_1) | instid1(VALU_DEP_4)
	v_add_co_u32 v9, vcc_lo, v9, v25
	v_add_co_ci_u32_e32 v10, vcc_lo, 0, v26, vcc_lo
	v_cmpx_ne_u32_e32 0, v20
	s_xor_b32 s0, exec_lo, s0
; %bb.66:                               ;   in Loop: Header=BB25_32 Depth=1
	s_delay_alu instid0(VALU_DEP_3) | instskip(SKIP_1) | instid1(VALU_DEP_2)
	v_and_b32_e32 v17, 0x1000000, v9
	v_bfe_u32 v14, v9, 24, 1
	v_cmp_eq_u64_e32 vcc_lo, 0, v[17:18]
	s_delay_alu instid0(VALU_DEP_2)
	v_lshrrev_b64 v[9:10], v14, v[9:10]
	v_cndmask_b32_e32 v14, v19, v20, vcc_lo
; %bb.67:                               ;   in Loop: Header=BB25_32 Depth=1
	s_and_not1_saveexec_b32 s0, s0
; %bb.68:                               ;   in Loop: Header=BB25_32 Depth=1
	s_delay_alu instid0(VALU_DEP_2)
	v_bfe_u32 v14, v9, 23, 1
; %bb.69:                               ;   in Loop: Header=BB25_32 Depth=1
	s_or_b32 exec_lo, exec_lo, s0
	s_delay_alu instid0(VALU_DEP_3) | instskip(NEXT) | instid1(VALU_DEP_2)
	v_lshrrev_b64 v[9:10], 20, v[9:10]
	v_cmp_gt_i32_e32 vcc_lo, 16, v14
	v_and_b32_e32 v13, 0x80, v13
	v_min_i32_e32 v17, 15, v14
	v_cmp_eq_u32_e64 s0, 0, v14
	v_dual_cndmask_b32 v10, 0, v10 :: v_dual_cndmask_b32 v9, 7, v9
	s_delay_alu instid0(VALU_DEP_3) | instskip(NEXT) | instid1(VALU_DEP_2)
	v_lshl_or_b32 v13, v17, 3, v13
	v_cmp_eq_u64_e32 vcc_lo, 0, v[9:10]
	s_delay_alu instid0(VALU_DEP_2)
	v_and_or_b32 v9, v9, 7, v13
	s_and_b32 s0, s0, vcc_lo
	s_delay_alu instid0(VALU_DEP_1) | instid1(SALU_CYCLE_1)
	v_cndmask_b32_e64 v9, v9, 0, s0
.LBB25_70:                              ;   in Loop: Header=BB25_32 Depth=1
	s_or_b32 exec_lo, exec_lo, s16
.LBB25_71:                              ;   in Loop: Header=BB25_32 Depth=1
	s_and_not1_saveexec_b32 s0, s15
	s_delay_alu instid0(SALU_CYCLE_1)
	s_or_b32 exec_lo, exec_lo, s0
.LBB25_72:                              ;   in Loop: Header=BB25_32 Depth=1
	s_and_not1_saveexec_b32 s0, s14
	s_delay_alu instid0(SALU_CYCLE_1) | instskip(SKIP_3) | instid1(VALU_DEP_2)
	s_or_b32 exec_lo, exec_lo, s0
	v_lshlrev_b32_e32 v10, 16, v15
	s_mov_b32 s0, exec_lo
	v_add_nc_u32_e32 v19, 3, v22
	v_mul_f32_e32 v10, v21, v10
	global_store_b8 v19, v9, s[2:3]
	v_bfe_u32 v13, v10, 16, 1
	s_delay_alu instid0(VALU_DEP_1) | instskip(NEXT) | instid1(VALU_DEP_1)
	v_add3_u32 v13, v10, v13, 0x7fff
	v_and_b32_e32 v13, 0xffff0000, v13
	v_cmp_o_f32_e32 vcc_lo, v10, v10
	s_delay_alu instid0(VALU_DEP_2) | instskip(NEXT) | instid1(VALU_DEP_1)
	v_dual_cndmask_b32 v10, 0x7fc00000, v13 :: v_dual_lshlrev_b32 v13, 16, v11
	v_mul_f32_e32 v10, v10, v13
	s_delay_alu instid0(VALU_DEP_1) | instskip(SKIP_1) | instid1(VALU_DEP_2)
	v_bfe_u32 v13, v10, 16, 1
	v_cmp_o_f32_e32 vcc_lo, v10, v10
	v_add3_u32 v13, v10, v13, 0x7fff
	s_delay_alu instid0(VALU_DEP_1) | instskip(NEXT) | instid1(VALU_DEP_1)
	v_and_b32_e32 v13, 0xffff0000, v13
	v_cndmask_b32_e32 v10, 0x7fc00000, v13, vcc_lo
	s_delay_alu instid0(VALU_DEP_1) | instskip(NEXT) | instid1(VALU_DEP_1)
	v_mul_f32_e32 v10, v23, v10
	v_minmax_f32 v14, v10, s13, 0xc3600000
	s_delay_alu instid0(VALU_DEP_1) | instskip(SKIP_1) | instid1(VALU_DEP_2)
	v_lshrrev_b32_e32 v13, 24, v14
	v_and_b32_e32 v17, 0x7f800000, v14
	v_or_b32_e32 v10, 0x7f, v13
	s_delay_alu instid0(VALU_DEP_2)
	v_cmpx_ne_u64_e32 0x7f800000, v[17:18]
	s_xor_b32 s14, exec_lo, s0
	s_cbranch_execz .LBB25_82
; %bb.73:                               ;   in Loop: Header=BB25_32 Depth=1
	v_and_b32_e32 v17, 0x7fffffff, v14
	s_mov_b32 s0, exec_lo
	s_delay_alu instid0(VALU_DEP_1)
	v_cmpx_gt_u64_e32 0x43700001, v[17:18]
	s_xor_b32 s15, exec_lo, s0
	s_cbranch_execz .LBB25_81
; %bb.74:                               ;   in Loop: Header=BB25_32 Depth=1
	v_mov_b32_e32 v10, 0
	s_mov_b32 s16, exec_lo
	v_cmpx_ne_u32_e32 0, v14
	s_cbranch_execz .LBB25_80
; %bb.75:                               ;   in Loop: Header=BB25_32 Depth=1
	v_bfe_u32 v27, v14, 23, 8
	v_and_b32_e32 v10, 0x7fffff, v14
	s_delay_alu instid0(VALU_DEP_2) | instskip(SKIP_2) | instid1(VALU_DEP_3)
	v_sub_nc_u32_e64 v9, 0x78, v27 clamp
	v_cmp_eq_u32_e32 vcc_lo, 0, v27
	v_add_nc_u32_e32 v27, 0xffffff89, v27
	v_cndmask_b32_e64 v14, v9, 0x77, vcc_lo
	v_or_b32_e32 v9, 0x800000, v10
	s_delay_alu instid0(VALU_DEP_2) | instskip(NEXT) | instid1(VALU_DEP_2)
	v_add_nc_u32_e32 v19, 20, v14
	v_cndmask_b32_e32 v17, v9, v10, vcc_lo
	s_delay_alu instid0(VALU_DEP_2) | instskip(SKIP_1) | instid1(VALU_DEP_3)
	v_lshlrev_b64 v[9:10], v19, -1
	v_add_nc_u32_e32 v19, 19, v14
	v_lshrrev_b64 v[25:26], v14, v[17:18]
	v_mov_b32_e32 v10, v18
	s_delay_alu instid0(VALU_DEP_3) | instskip(SKIP_1) | instid1(VALU_DEP_1)
	v_lshlrev_b64 v[19:20], v19, 1
	v_not_b32_e32 v9, v9
	v_and_b32_e32 v9, v17, v9
	v_and_b32_e32 v17, 0x100000, v25
	s_delay_alu instid0(VALU_DEP_2) | instskip(NEXT) | instid1(VALU_DEP_2)
	v_cmp_eq_u64_e64 s0, v[9:10], v[19:20]
	v_cmp_eq_u64_e64 s1, 0, v[17:18]
	v_cndmask_b32_e64 v9, v27, 0xffffff8a, vcc_lo
	v_lshrrev_b32_e32 v10, 23, v25
	s_delay_alu instid0(VALU_DEP_3) | instskip(NEXT) | instid1(VALU_DEP_1)
	s_and_b32 vcc_lo, s1, s0
	v_add3_u32 v19, v9, v14, v10
	v_subrev_co_ci_u32_e32 v17, vcc_lo, 0, v25, vcc_lo
	s_mov_b32 s0, exec_lo
                                        ; implicit-def: $vgpr14
	s_delay_alu instid0(VALU_DEP_2) | instskip(NEXT) | instid1(VALU_DEP_2)
	v_add_nc_u32_e32 v20, -1, v19
	v_and_b32_e32 v9, 0xfffff, v17
	s_delay_alu instid0(VALU_DEP_1) | instskip(SKIP_1) | instid1(VALU_DEP_4)
	v_add_co_u32 v9, vcc_lo, v9, v25
	v_add_co_ci_u32_e32 v10, vcc_lo, 0, v26, vcc_lo
	v_cmpx_ne_u32_e32 0, v20
	s_xor_b32 s0, exec_lo, s0
; %bb.76:                               ;   in Loop: Header=BB25_32 Depth=1
	s_delay_alu instid0(VALU_DEP_3) | instskip(SKIP_1) | instid1(VALU_DEP_2)
	v_and_b32_e32 v17, 0x1000000, v9
	v_bfe_u32 v14, v9, 24, 1
	v_cmp_eq_u64_e32 vcc_lo, 0, v[17:18]
	s_delay_alu instid0(VALU_DEP_2)
	v_lshrrev_b64 v[9:10], v14, v[9:10]
	v_cndmask_b32_e32 v14, v19, v20, vcc_lo
; %bb.77:                               ;   in Loop: Header=BB25_32 Depth=1
	s_and_not1_saveexec_b32 s0, s0
; %bb.78:                               ;   in Loop: Header=BB25_32 Depth=1
	s_delay_alu instid0(VALU_DEP_2)
	v_bfe_u32 v14, v9, 23, 1
; %bb.79:                               ;   in Loop: Header=BB25_32 Depth=1
	s_or_b32 exec_lo, exec_lo, s0
	s_delay_alu instid0(VALU_DEP_3) | instskip(NEXT) | instid1(VALU_DEP_2)
	v_lshrrev_b64 v[9:10], 20, v[9:10]
	v_cmp_gt_i32_e32 vcc_lo, 16, v14
	v_and_b32_e32 v13, 0x80, v13
	v_min_i32_e32 v17, 15, v14
	v_cmp_eq_u32_e64 s0, 0, v14
	v_dual_cndmask_b32 v10, 0, v10 :: v_dual_cndmask_b32 v9, 7, v9
	s_delay_alu instid0(VALU_DEP_3) | instskip(NEXT) | instid1(VALU_DEP_2)
	v_lshl_or_b32 v13, v17, 3, v13
	v_cmp_eq_u64_e32 vcc_lo, 0, v[9:10]
	s_delay_alu instid0(VALU_DEP_2)
	v_and_or_b32 v9, v9, 7, v13
	s_and_b32 s0, s0, vcc_lo
	s_delay_alu instid0(VALU_DEP_1) | instid1(SALU_CYCLE_1)
	v_cndmask_b32_e64 v10, v9, 0, s0
.LBB25_80:                              ;   in Loop: Header=BB25_32 Depth=1
	s_or_b32 exec_lo, exec_lo, s16
.LBB25_81:                              ;   in Loop: Header=BB25_32 Depth=1
	s_and_not1_saveexec_b32 s0, s15
	s_delay_alu instid0(SALU_CYCLE_1)
	s_or_b32 exec_lo, exec_lo, s0
.LBB25_82:                              ;   in Loop: Header=BB25_32 Depth=1
	s_and_not1_saveexec_b32 s0, s14
	s_delay_alu instid0(SALU_CYCLE_1) | instskip(SKIP_3) | instid1(VALU_DEP_2)
	s_or_b32 exec_lo, exec_lo, s0
	v_and_b32_e32 v9, 0xffff0000, v15
	v_and_b32_e32 v11, 0xffff0000, v11
	s_mov_b32 s0, exec_lo
	v_dual_mul_f32 v9, v21, v9 :: v_dual_add_nc_u32 v14, 4, v22
	global_store_b8 v14, v10, s[2:3]
	v_bfe_u32 v13, v9, 16, 1
	v_cmp_o_f32_e32 vcc_lo, v9, v9
	s_delay_alu instid0(VALU_DEP_2) | instskip(NEXT) | instid1(VALU_DEP_1)
	v_add3_u32 v13, v9, v13, 0x7fff
	v_and_b32_e32 v13, 0xffff0000, v13
	s_delay_alu instid0(VALU_DEP_1) | instskip(NEXT) | instid1(VALU_DEP_1)
	v_cndmask_b32_e32 v9, 0x7fc00000, v13, vcc_lo
	v_mul_f32_e32 v9, v9, v11
	s_delay_alu instid0(VALU_DEP_1) | instskip(SKIP_1) | instid1(VALU_DEP_2)
	v_bfe_u32 v11, v9, 16, 1
	v_cmp_o_f32_e32 vcc_lo, v9, v9
	v_add3_u32 v11, v9, v11, 0x7fff
	s_delay_alu instid0(VALU_DEP_1) | instskip(NEXT) | instid1(VALU_DEP_1)
	v_and_b32_e32 v11, 0xffff0000, v11
	v_cndmask_b32_e32 v9, 0x7fc00000, v11, vcc_lo
	s_delay_alu instid0(VALU_DEP_1) | instskip(NEXT) | instid1(VALU_DEP_1)
	v_mul_f32_e32 v9, v23, v9
	v_minmax_f32 v13, v9, s13, 0xc3600000
	s_delay_alu instid0(VALU_DEP_1) | instskip(SKIP_1) | instid1(VALU_DEP_2)
	v_lshrrev_b32_e32 v11, 24, v13
	v_and_b32_e32 v17, 0x7f800000, v13
	v_or_b32_e32 v9, 0x7f, v11
	s_delay_alu instid0(VALU_DEP_2)
	v_cmpx_ne_u64_e32 0x7f800000, v[17:18]
	s_xor_b32 s14, exec_lo, s0
	s_cbranch_execz .LBB25_92
; %bb.83:                               ;   in Loop: Header=BB25_32 Depth=1
	v_and_b32_e32 v17, 0x7fffffff, v13
	s_mov_b32 s0, exec_lo
	s_delay_alu instid0(VALU_DEP_1)
	v_cmpx_gt_u64_e32 0x43700001, v[17:18]
	s_xor_b32 s15, exec_lo, s0
	s_cbranch_execz .LBB25_91
; %bb.84:                               ;   in Loop: Header=BB25_32 Depth=1
	v_mov_b32_e32 v9, 0
	s_mov_b32 s16, exec_lo
	v_cmpx_ne_u32_e32 0, v13
	s_cbranch_execz .LBB25_90
; %bb.85:                               ;   in Loop: Header=BB25_32 Depth=1
	v_bfe_u32 v15, v13, 23, 8
	v_and_b32_e32 v10, 0x7fffff, v13
	s_delay_alu instid0(VALU_DEP_2) | instskip(SKIP_2) | instid1(VALU_DEP_3)
	v_sub_nc_u32_e64 v9, 0x78, v15 clamp
	v_cmp_eq_u32_e32 vcc_lo, 0, v15
	v_add_nc_u32_e32 v15, 0xffffff89, v15
	v_cndmask_b32_e64 v25, v9, 0x77, vcc_lo
	v_or_b32_e32 v9, 0x800000, v10
	s_delay_alu instid0(VALU_DEP_2) | instskip(NEXT) | instid1(VALU_DEP_2)
	v_add_nc_u32_e32 v13, 20, v25
	v_cndmask_b32_e32 v17, v9, v10, vcc_lo
	s_delay_alu instid0(VALU_DEP_2) | instskip(SKIP_1) | instid1(VALU_DEP_3)
	v_lshlrev_b64 v[9:10], v13, -1
	v_dual_mov_b32 v10, v18 :: v_dual_add_nc_u32 v13, 19, v25
	v_lshrrev_b64 v[19:20], v25, v[17:18]
	s_delay_alu instid0(VALU_DEP_3) | instskip(NEXT) | instid1(VALU_DEP_3)
	v_not_b32_e32 v9, v9
	v_lshlrev_b64 v[13:14], v13, 1
	s_delay_alu instid0(VALU_DEP_2) | instskip(NEXT) | instid1(VALU_DEP_4)
	v_and_b32_e32 v9, v17, v9
	v_and_b32_e32 v17, 0x100000, v19
	s_delay_alu instid0(VALU_DEP_2) | instskip(NEXT) | instid1(VALU_DEP_2)
	v_cmp_eq_u64_e64 s0, v[9:10], v[13:14]
	v_cmp_eq_u64_e64 s1, 0, v[17:18]
	v_cndmask_b32_e64 v9, v15, 0xffffff8a, vcc_lo
	v_lshrrev_b32_e32 v10, 23, v19
	s_delay_alu instid0(VALU_DEP_3) | instskip(NEXT) | instid1(VALU_DEP_1)
	s_and_b32 vcc_lo, s1, s0
	v_add3_u32 v14, v9, v25, v10
	v_subrev_co_ci_u32_e32 v13, vcc_lo, 0, v19, vcc_lo
	s_mov_b32 s0, exec_lo
	s_delay_alu instid0(VALU_DEP_2) | instskip(NEXT) | instid1(VALU_DEP_2)
	v_add_nc_u32_e32 v15, -1, v14
	v_and_b32_e32 v9, 0xfffff, v13
                                        ; implicit-def: $vgpr13
	s_delay_alu instid0(VALU_DEP_1) | instskip(SKIP_1) | instid1(VALU_DEP_4)
	v_add_co_u32 v9, vcc_lo, v9, v19
	v_add_co_ci_u32_e32 v10, vcc_lo, 0, v20, vcc_lo
	v_cmpx_ne_u32_e32 0, v15
	s_xor_b32 s0, exec_lo, s0
; %bb.86:                               ;   in Loop: Header=BB25_32 Depth=1
	s_delay_alu instid0(VALU_DEP_3) | instskip(SKIP_1) | instid1(VALU_DEP_2)
	v_and_b32_e32 v17, 0x1000000, v9
	v_bfe_u32 v13, v9, 24, 1
	v_cmp_eq_u64_e32 vcc_lo, 0, v[17:18]
	s_delay_alu instid0(VALU_DEP_2)
	v_lshrrev_b64 v[9:10], v13, v[9:10]
	v_cndmask_b32_e32 v13, v14, v15, vcc_lo
; %bb.87:                               ;   in Loop: Header=BB25_32 Depth=1
	s_and_not1_saveexec_b32 s0, s0
; %bb.88:                               ;   in Loop: Header=BB25_32 Depth=1
	s_delay_alu instid0(VALU_DEP_2)
	v_bfe_u32 v13, v9, 23, 1
; %bb.89:                               ;   in Loop: Header=BB25_32 Depth=1
	s_or_b32 exec_lo, exec_lo, s0
	s_delay_alu instid0(VALU_DEP_3) | instskip(NEXT) | instid1(VALU_DEP_2)
	v_lshrrev_b64 v[9:10], 20, v[9:10]
	v_cmp_gt_i32_e32 vcc_lo, 16, v13
	v_and_b32_e32 v11, 0x80, v11
	v_min_i32_e32 v14, 15, v13
	v_cmp_eq_u32_e64 s0, 0, v13
	v_dual_cndmask_b32 v10, 0, v10 :: v_dual_cndmask_b32 v9, 7, v9
	s_delay_alu instid0(VALU_DEP_3) | instskip(NEXT) | instid1(VALU_DEP_2)
	v_lshl_or_b32 v11, v14, 3, v11
	v_cmp_eq_u64_e32 vcc_lo, 0, v[9:10]
	s_delay_alu instid0(VALU_DEP_2)
	v_and_or_b32 v9, v9, 7, v11
	s_and_b32 s0, s0, vcc_lo
	s_delay_alu instid0(VALU_DEP_1) | instid1(SALU_CYCLE_1)
	v_cndmask_b32_e64 v9, v9, 0, s0
.LBB25_90:                              ;   in Loop: Header=BB25_32 Depth=1
	s_or_b32 exec_lo, exec_lo, s16
.LBB25_91:                              ;   in Loop: Header=BB25_32 Depth=1
	s_and_not1_saveexec_b32 s0, s15
	s_delay_alu instid0(SALU_CYCLE_1)
	s_or_b32 exec_lo, exec_lo, s0
.LBB25_92:                              ;   in Loop: Header=BB25_32 Depth=1
	s_and_not1_saveexec_b32 s0, s14
	s_delay_alu instid0(SALU_CYCLE_1) | instskip(SKIP_3) | instid1(VALU_DEP_2)
	s_or_b32 exec_lo, exec_lo, s0
	v_lshlrev_b32_e32 v10, 16, v16
	v_add_nc_u32_e32 v14, 5, v22
	s_mov_b32 s0, exec_lo
	v_mul_f32_e32 v10, v21, v10
	global_store_b8 v14, v9, s[2:3]
	v_bfe_u32 v11, v10, 16, 1
	s_delay_alu instid0(VALU_DEP_1) | instskip(NEXT) | instid1(VALU_DEP_1)
	v_add3_u32 v11, v10, v11, 0x7fff
	v_and_b32_e32 v11, 0xffff0000, v11
	v_cmp_o_f32_e32 vcc_lo, v10, v10
	s_delay_alu instid0(VALU_DEP_2) | instskip(NEXT) | instid1(VALU_DEP_1)
	v_dual_cndmask_b32 v10, 0x7fc00000, v11 :: v_dual_lshlrev_b32 v11, 16, v12
	v_mul_f32_e32 v10, v10, v11
	s_delay_alu instid0(VALU_DEP_1) | instskip(SKIP_1) | instid1(VALU_DEP_2)
	v_bfe_u32 v11, v10, 16, 1
	v_cmp_o_f32_e32 vcc_lo, v10, v10
	v_add3_u32 v11, v10, v11, 0x7fff
	s_delay_alu instid0(VALU_DEP_1) | instskip(NEXT) | instid1(VALU_DEP_1)
	v_and_b32_e32 v11, 0xffff0000, v11
	v_cndmask_b32_e32 v10, 0x7fc00000, v11, vcc_lo
	s_delay_alu instid0(VALU_DEP_1) | instskip(NEXT) | instid1(VALU_DEP_1)
	v_mul_f32_e32 v10, v23, v10
	v_minmax_f32 v13, v10, s13, 0xc3600000
	s_delay_alu instid0(VALU_DEP_1) | instskip(SKIP_1) | instid1(VALU_DEP_2)
	v_lshrrev_b32_e32 v11, 24, v13
	v_and_b32_e32 v17, 0x7f800000, v13
	v_or_b32_e32 v10, 0x7f, v11
	s_delay_alu instid0(VALU_DEP_2)
	v_cmpx_ne_u64_e32 0x7f800000, v[17:18]
	s_xor_b32 s14, exec_lo, s0
	s_cbranch_execz .LBB25_102
; %bb.93:                               ;   in Loop: Header=BB25_32 Depth=1
	v_and_b32_e32 v17, 0x7fffffff, v13
	s_mov_b32 s0, exec_lo
	s_delay_alu instid0(VALU_DEP_1)
	v_cmpx_gt_u64_e32 0x43700001, v[17:18]
	s_xor_b32 s15, exec_lo, s0
	s_cbranch_execz .LBB25_101
; %bb.94:                               ;   in Loop: Header=BB25_32 Depth=1
	v_mov_b32_e32 v10, 0
	s_mov_b32 s16, exec_lo
	v_cmpx_ne_u32_e32 0, v13
	s_cbranch_execz .LBB25_100
; %bb.95:                               ;   in Loop: Header=BB25_32 Depth=1
	v_bfe_u32 v15, v13, 23, 8
	v_and_b32_e32 v10, 0x7fffff, v13
	s_delay_alu instid0(VALU_DEP_2) | instskip(SKIP_2) | instid1(VALU_DEP_3)
	v_sub_nc_u32_e64 v9, 0x78, v15 clamp
	v_cmp_eq_u32_e32 vcc_lo, 0, v15
	v_add_nc_u32_e32 v15, 0xffffff89, v15
	v_cndmask_b32_e64 v25, v9, 0x77, vcc_lo
	v_or_b32_e32 v9, 0x800000, v10
	s_delay_alu instid0(VALU_DEP_2) | instskip(NEXT) | instid1(VALU_DEP_2)
	v_add_nc_u32_e32 v13, 20, v25
	v_cndmask_b32_e32 v17, v9, v10, vcc_lo
	s_delay_alu instid0(VALU_DEP_2) | instskip(SKIP_1) | instid1(VALU_DEP_3)
	v_lshlrev_b64 v[9:10], v13, -1
	v_dual_mov_b32 v10, v18 :: v_dual_add_nc_u32 v13, 19, v25
	v_lshrrev_b64 v[19:20], v25, v[17:18]
	s_delay_alu instid0(VALU_DEP_3) | instskip(NEXT) | instid1(VALU_DEP_3)
	v_not_b32_e32 v9, v9
	v_lshlrev_b64 v[13:14], v13, 1
	s_delay_alu instid0(VALU_DEP_2) | instskip(NEXT) | instid1(VALU_DEP_4)
	v_and_b32_e32 v9, v17, v9
	v_and_b32_e32 v17, 0x100000, v19
	s_delay_alu instid0(VALU_DEP_2) | instskip(NEXT) | instid1(VALU_DEP_2)
	v_cmp_eq_u64_e64 s0, v[9:10], v[13:14]
	v_cmp_eq_u64_e64 s1, 0, v[17:18]
	v_cndmask_b32_e64 v9, v15, 0xffffff8a, vcc_lo
	v_lshrrev_b32_e32 v10, 23, v19
	s_delay_alu instid0(VALU_DEP_3) | instskip(NEXT) | instid1(VALU_DEP_1)
	s_and_b32 vcc_lo, s1, s0
	v_add3_u32 v14, v9, v25, v10
	v_subrev_co_ci_u32_e32 v13, vcc_lo, 0, v19, vcc_lo
	s_mov_b32 s0, exec_lo
	s_delay_alu instid0(VALU_DEP_2) | instskip(NEXT) | instid1(VALU_DEP_2)
	v_add_nc_u32_e32 v15, -1, v14
	v_and_b32_e32 v9, 0xfffff, v13
                                        ; implicit-def: $vgpr13
	s_delay_alu instid0(VALU_DEP_1) | instskip(SKIP_1) | instid1(VALU_DEP_4)
	v_add_co_u32 v9, vcc_lo, v9, v19
	v_add_co_ci_u32_e32 v10, vcc_lo, 0, v20, vcc_lo
	v_cmpx_ne_u32_e32 0, v15
	s_xor_b32 s0, exec_lo, s0
; %bb.96:                               ;   in Loop: Header=BB25_32 Depth=1
	s_delay_alu instid0(VALU_DEP_3) | instskip(SKIP_1) | instid1(VALU_DEP_2)
	v_and_b32_e32 v17, 0x1000000, v9
	v_bfe_u32 v13, v9, 24, 1
	v_cmp_eq_u64_e32 vcc_lo, 0, v[17:18]
	s_delay_alu instid0(VALU_DEP_2)
	v_lshrrev_b64 v[9:10], v13, v[9:10]
	v_cndmask_b32_e32 v13, v14, v15, vcc_lo
; %bb.97:                               ;   in Loop: Header=BB25_32 Depth=1
	s_and_not1_saveexec_b32 s0, s0
; %bb.98:                               ;   in Loop: Header=BB25_32 Depth=1
	s_delay_alu instid0(VALU_DEP_2)
	v_bfe_u32 v13, v9, 23, 1
; %bb.99:                               ;   in Loop: Header=BB25_32 Depth=1
	s_or_b32 exec_lo, exec_lo, s0
	s_delay_alu instid0(VALU_DEP_3) | instskip(NEXT) | instid1(VALU_DEP_2)
	v_lshrrev_b64 v[9:10], 20, v[9:10]
	v_cmp_gt_i32_e32 vcc_lo, 16, v13
	v_and_b32_e32 v11, 0x80, v11
	v_min_i32_e32 v14, 15, v13
	v_cmp_eq_u32_e64 s0, 0, v13
	v_dual_cndmask_b32 v10, 0, v10 :: v_dual_cndmask_b32 v9, 7, v9
	s_delay_alu instid0(VALU_DEP_3) | instskip(NEXT) | instid1(VALU_DEP_2)
	v_lshl_or_b32 v11, v14, 3, v11
	v_cmp_eq_u64_e32 vcc_lo, 0, v[9:10]
	s_delay_alu instid0(VALU_DEP_2)
	v_and_or_b32 v9, v9, 7, v11
	s_and_b32 s0, s0, vcc_lo
	s_delay_alu instid0(VALU_DEP_1) | instid1(SALU_CYCLE_1)
	v_cndmask_b32_e64 v10, v9, 0, s0
.LBB25_100:                             ;   in Loop: Header=BB25_32 Depth=1
	s_or_b32 exec_lo, exec_lo, s16
.LBB25_101:                             ;   in Loop: Header=BB25_32 Depth=1
	s_and_not1_saveexec_b32 s0, s15
	s_delay_alu instid0(SALU_CYCLE_1)
	s_or_b32 exec_lo, exec_lo, s0
.LBB25_102:                             ;   in Loop: Header=BB25_32 Depth=1
	s_and_not1_saveexec_b32 s0, s14
	s_delay_alu instid0(SALU_CYCLE_1) | instskip(SKIP_3) | instid1(VALU_DEP_2)
	s_or_b32 exec_lo, exec_lo, s0
	v_and_b32_e32 v9, 0xffff0000, v16
	v_add_nc_u32_e32 v13, 6, v22
	s_mov_b32 s0, exec_lo
	v_mul_f32_e32 v9, v21, v9
	global_store_b8 v13, v10, s[2:3]
	v_bfe_u32 v11, v9, 16, 1
	v_cmp_o_f32_e32 vcc_lo, v9, v9
	s_delay_alu instid0(VALU_DEP_2) | instskip(NEXT) | instid1(VALU_DEP_1)
	v_add3_u32 v11, v9, v11, 0x7fff
	v_and_b32_e32 v11, 0xffff0000, v11
	s_delay_alu instid0(VALU_DEP_1) | instskip(SKIP_1) | instid1(VALU_DEP_1)
	v_cndmask_b32_e32 v9, 0x7fc00000, v11, vcc_lo
	v_and_b32_e32 v11, 0xffff0000, v12
	v_mul_f32_e32 v9, v9, v11
	s_delay_alu instid0(VALU_DEP_1) | instskip(SKIP_1) | instid1(VALU_DEP_2)
	v_bfe_u32 v11, v9, 16, 1
	v_cmp_o_f32_e32 vcc_lo, v9, v9
	v_add3_u32 v11, v9, v11, 0x7fff
	s_delay_alu instid0(VALU_DEP_1) | instskip(NEXT) | instid1(VALU_DEP_1)
	v_and_b32_e32 v11, 0xffff0000, v11
	v_cndmask_b32_e32 v9, 0x7fc00000, v11, vcc_lo
	s_delay_alu instid0(VALU_DEP_1) | instskip(NEXT) | instid1(VALU_DEP_1)
	v_mul_f32_e32 v9, v23, v9
	v_minmax_f32 v12, v9, s13, 0xc3600000
	s_delay_alu instid0(VALU_DEP_1) | instskip(SKIP_1) | instid1(VALU_DEP_2)
	v_lshrrev_b32_e32 v11, 24, v12
	v_and_b32_e32 v17, 0x7f800000, v12
	v_or_b32_e32 v9, 0x7f, v11
	s_delay_alu instid0(VALU_DEP_2)
	v_cmpx_ne_u64_e32 0x7f800000, v[17:18]
	s_xor_b32 s14, exec_lo, s0
	s_cbranch_execz .LBB25_112
; %bb.103:                              ;   in Loop: Header=BB25_32 Depth=1
	v_and_b32_e32 v17, 0x7fffffff, v12
	s_mov_b32 s0, exec_lo
	s_delay_alu instid0(VALU_DEP_1)
	v_cmpx_gt_u64_e32 0x43700001, v[17:18]
	s_xor_b32 s15, exec_lo, s0
	s_cbranch_execz .LBB25_111
; %bb.104:                              ;   in Loop: Header=BB25_32 Depth=1
	v_mov_b32_e32 v9, 0
	s_mov_b32 s16, exec_lo
	v_cmpx_ne_u32_e32 0, v12
	s_cbranch_execz .LBB25_110
; %bb.105:                              ;   in Loop: Header=BB25_32 Depth=1
	v_bfe_u32 v14, v12, 23, 8
	v_and_b32_e32 v10, 0x7fffff, v12
	s_delay_alu instid0(VALU_DEP_2) | instskip(SKIP_2) | instid1(VALU_DEP_3)
	v_sub_nc_u32_e64 v9, 0x78, v14 clamp
	v_cmp_eq_u32_e32 vcc_lo, 0, v14
	v_add_nc_u32_e32 v14, 0xffffff89, v14
	v_cndmask_b32_e64 v19, v9, 0x77, vcc_lo
	v_or_b32_e32 v9, 0x800000, v10
	s_delay_alu instid0(VALU_DEP_1) | instskip(NEXT) | instid1(VALU_DEP_1)
	v_dual_cndmask_b32 v17, v9, v10 :: v_dual_add_nc_u32 v12, 20, v19
	v_lshlrev_b64 v[9:10], v12, -1
	v_add_nc_u32_e32 v12, 19, v19
	s_delay_alu instid0(VALU_DEP_3) | instskip(NEXT) | instid1(VALU_DEP_2)
	v_lshrrev_b64 v[15:16], v19, v[17:18]
	v_lshlrev_b64 v[12:13], v12, 1
	s_delay_alu instid0(VALU_DEP_4) | instskip(NEXT) | instid1(VALU_DEP_1)
	v_not_b32_e32 v9, v9
	v_dual_mov_b32 v10, v18 :: v_dual_and_b32 v9, v17, v9
	s_delay_alu instid0(VALU_DEP_4) | instskip(NEXT) | instid1(VALU_DEP_2)
	v_and_b32_e32 v17, 0x100000, v15
	v_cmp_eq_u64_e64 s0, v[9:10], v[12:13]
	s_delay_alu instid0(VALU_DEP_2) | instskip(SKIP_2) | instid1(VALU_DEP_3)
	v_cmp_eq_u64_e64 s1, 0, v[17:18]
	v_cndmask_b32_e64 v9, v14, 0xffffff8a, vcc_lo
	v_lshrrev_b32_e32 v10, 23, v15
	s_and_b32 vcc_lo, s1, s0
	s_delay_alu instid0(VALU_DEP_1) | instskip(SKIP_2) | instid1(VALU_DEP_2)
	v_add3_u32 v13, v9, v19, v10
	v_subrev_co_ci_u32_e32 v12, vcc_lo, 0, v15, vcc_lo
	s_mov_b32 s0, exec_lo
	v_add_nc_u32_e32 v14, -1, v13
	s_delay_alu instid0(VALU_DEP_2) | instskip(NEXT) | instid1(VALU_DEP_1)
	v_and_b32_e32 v9, 0xfffff, v12
                                        ; implicit-def: $vgpr12
	v_add_co_u32 v9, vcc_lo, v9, v15
	v_add_co_ci_u32_e32 v10, vcc_lo, 0, v16, vcc_lo
	s_delay_alu instid0(VALU_DEP_4)
	v_cmpx_ne_u32_e32 0, v14
	s_xor_b32 s0, exec_lo, s0
; %bb.106:                              ;   in Loop: Header=BB25_32 Depth=1
	s_delay_alu instid0(VALU_DEP_3) | instskip(SKIP_1) | instid1(VALU_DEP_2)
	v_and_b32_e32 v17, 0x1000000, v9
	v_bfe_u32 v12, v9, 24, 1
	v_cmp_eq_u64_e32 vcc_lo, 0, v[17:18]
	s_delay_alu instid0(VALU_DEP_2)
	v_lshrrev_b64 v[9:10], v12, v[9:10]
	v_cndmask_b32_e32 v12, v13, v14, vcc_lo
; %bb.107:                              ;   in Loop: Header=BB25_32 Depth=1
	s_and_not1_saveexec_b32 s0, s0
; %bb.108:                              ;   in Loop: Header=BB25_32 Depth=1
	s_delay_alu instid0(VALU_DEP_2)
	v_bfe_u32 v12, v9, 23, 1
; %bb.109:                              ;   in Loop: Header=BB25_32 Depth=1
	s_or_b32 exec_lo, exec_lo, s0
	s_delay_alu instid0(VALU_DEP_3) | instskip(NEXT) | instid1(VALU_DEP_2)
	v_lshrrev_b64 v[9:10], 20, v[9:10]
	v_cmp_gt_i32_e32 vcc_lo, 16, v12
	v_and_b32_e32 v11, 0x80, v11
	v_min_i32_e32 v13, 15, v12
	v_cmp_eq_u32_e64 s0, 0, v12
	v_dual_cndmask_b32 v10, 0, v10 :: v_dual_cndmask_b32 v9, 7, v9
	s_delay_alu instid0(VALU_DEP_3) | instskip(NEXT) | instid1(VALU_DEP_2)
	v_lshl_or_b32 v11, v13, 3, v11
	v_cmp_eq_u64_e32 vcc_lo, 0, v[9:10]
	s_delay_alu instid0(VALU_DEP_2)
	v_and_or_b32 v9, v9, 7, v11
	s_and_b32 s0, s0, vcc_lo
	s_delay_alu instid0(VALU_DEP_1) | instid1(SALU_CYCLE_1)
	v_cndmask_b32_e64 v9, v9, 0, s0
.LBB25_110:                             ;   in Loop: Header=BB25_32 Depth=1
	s_or_b32 exec_lo, exec_lo, s16
.LBB25_111:                             ;   in Loop: Header=BB25_32 Depth=1
	s_and_not1_saveexec_b32 s0, s15
	s_delay_alu instid0(SALU_CYCLE_1)
	s_or_b32 exec_lo, exec_lo, s0
.LBB25_112:                             ;   in Loop: Header=BB25_32 Depth=1
	s_and_not1_saveexec_b32 s0, s14
	s_delay_alu instid0(SALU_CYCLE_1) | instskip(SKIP_4) | instid1(VALU_DEP_2)
	s_or_b32 exec_lo, exec_lo, s0
	s_waitcnt vmcnt(1)
	v_lshlrev_b32_e32 v10, 16, v5
	s_mov_b32 s0, exec_lo
	v_add_nc_u32_e32 v13, 7, v22
	v_mul_f32_e32 v10, v21, v10
	global_store_b8 v13, v9, s[2:3]
	v_bfe_u32 v11, v10, 16, 1
	s_delay_alu instid0(VALU_DEP_1) | instskip(NEXT) | instid1(VALU_DEP_1)
	v_add3_u32 v11, v10, v11, 0x7fff
	v_and_b32_e32 v11, 0xffff0000, v11
	v_cmp_o_f32_e32 vcc_lo, v10, v10
	s_waitcnt vmcnt(0)
	s_delay_alu instid0(VALU_DEP_2) | instskip(NEXT) | instid1(VALU_DEP_1)
	v_dual_cndmask_b32 v10, 0x7fc00000, v11 :: v_dual_lshlrev_b32 v11, 16, v1
	v_mul_f32_e32 v10, v10, v11
	s_delay_alu instid0(VALU_DEP_1) | instskip(SKIP_1) | instid1(VALU_DEP_2)
	v_bfe_u32 v11, v10, 16, 1
	v_cmp_o_f32_e32 vcc_lo, v10, v10
	v_add3_u32 v11, v10, v11, 0x7fff
	s_delay_alu instid0(VALU_DEP_1) | instskip(NEXT) | instid1(VALU_DEP_1)
	v_and_b32_e32 v11, 0xffff0000, v11
	v_cndmask_b32_e32 v10, 0x7fc00000, v11, vcc_lo
	s_delay_alu instid0(VALU_DEP_1) | instskip(NEXT) | instid1(VALU_DEP_1)
	v_mul_f32_e32 v10, v23, v10
	v_minmax_f32 v12, v10, s13, 0xc3600000
	s_delay_alu instid0(VALU_DEP_1) | instskip(SKIP_1) | instid1(VALU_DEP_2)
	v_lshrrev_b32_e32 v11, 24, v12
	v_and_b32_e32 v17, 0x7f800000, v12
	v_or_b32_e32 v10, 0x7f, v11
	s_delay_alu instid0(VALU_DEP_2)
	v_cmpx_ne_u64_e32 0x7f800000, v[17:18]
	s_xor_b32 s14, exec_lo, s0
	s_cbranch_execz .LBB25_122
; %bb.113:                              ;   in Loop: Header=BB25_32 Depth=1
	v_and_b32_e32 v17, 0x7fffffff, v12
	s_mov_b32 s0, exec_lo
	s_delay_alu instid0(VALU_DEP_1)
	v_cmpx_gt_u64_e32 0x43700001, v[17:18]
	s_xor_b32 s15, exec_lo, s0
	s_cbranch_execz .LBB25_121
; %bb.114:                              ;   in Loop: Header=BB25_32 Depth=1
	v_mov_b32_e32 v10, 0
	s_mov_b32 s16, exec_lo
	v_cmpx_ne_u32_e32 0, v12
	s_cbranch_execz .LBB25_120
; %bb.115:                              ;   in Loop: Header=BB25_32 Depth=1
	v_bfe_u32 v14, v12, 23, 8
	v_and_b32_e32 v10, 0x7fffff, v12
	s_delay_alu instid0(VALU_DEP_2) | instskip(SKIP_2) | instid1(VALU_DEP_3)
	v_sub_nc_u32_e64 v9, 0x78, v14 clamp
	v_cmp_eq_u32_e32 vcc_lo, 0, v14
	v_add_nc_u32_e32 v14, 0xffffff89, v14
	v_cndmask_b32_e64 v19, v9, 0x77, vcc_lo
	v_or_b32_e32 v9, 0x800000, v10
	s_delay_alu instid0(VALU_DEP_1) | instskip(NEXT) | instid1(VALU_DEP_1)
	v_dual_cndmask_b32 v17, v9, v10 :: v_dual_add_nc_u32 v12, 20, v19
	v_lshlrev_b64 v[9:10], v12, -1
	v_add_nc_u32_e32 v12, 19, v19
	s_delay_alu instid0(VALU_DEP_3) | instskip(NEXT) | instid1(VALU_DEP_2)
	v_lshrrev_b64 v[15:16], v19, v[17:18]
	v_lshlrev_b64 v[12:13], v12, 1
	s_delay_alu instid0(VALU_DEP_4) | instskip(NEXT) | instid1(VALU_DEP_1)
	v_not_b32_e32 v9, v9
	v_dual_mov_b32 v10, v18 :: v_dual_and_b32 v9, v17, v9
	s_delay_alu instid0(VALU_DEP_4) | instskip(NEXT) | instid1(VALU_DEP_2)
	v_and_b32_e32 v17, 0x100000, v15
	v_cmp_eq_u64_e64 s0, v[9:10], v[12:13]
	s_delay_alu instid0(VALU_DEP_2) | instskip(SKIP_2) | instid1(VALU_DEP_3)
	v_cmp_eq_u64_e64 s1, 0, v[17:18]
	v_cndmask_b32_e64 v9, v14, 0xffffff8a, vcc_lo
	v_lshrrev_b32_e32 v10, 23, v15
	s_and_b32 vcc_lo, s1, s0
	s_delay_alu instid0(VALU_DEP_1) | instskip(SKIP_2) | instid1(VALU_DEP_2)
	v_add3_u32 v13, v9, v19, v10
	v_subrev_co_ci_u32_e32 v12, vcc_lo, 0, v15, vcc_lo
	s_mov_b32 s0, exec_lo
	v_add_nc_u32_e32 v14, -1, v13
	s_delay_alu instid0(VALU_DEP_2) | instskip(NEXT) | instid1(VALU_DEP_1)
	v_and_b32_e32 v9, 0xfffff, v12
                                        ; implicit-def: $vgpr12
	v_add_co_u32 v9, vcc_lo, v9, v15
	v_add_co_ci_u32_e32 v10, vcc_lo, 0, v16, vcc_lo
	s_delay_alu instid0(VALU_DEP_4)
	v_cmpx_ne_u32_e32 0, v14
	s_xor_b32 s0, exec_lo, s0
; %bb.116:                              ;   in Loop: Header=BB25_32 Depth=1
	s_delay_alu instid0(VALU_DEP_3) | instskip(SKIP_1) | instid1(VALU_DEP_2)
	v_and_b32_e32 v17, 0x1000000, v9
	v_bfe_u32 v12, v9, 24, 1
	v_cmp_eq_u64_e32 vcc_lo, 0, v[17:18]
	s_delay_alu instid0(VALU_DEP_2)
	v_lshrrev_b64 v[9:10], v12, v[9:10]
	v_cndmask_b32_e32 v12, v13, v14, vcc_lo
; %bb.117:                              ;   in Loop: Header=BB25_32 Depth=1
	s_and_not1_saveexec_b32 s0, s0
; %bb.118:                              ;   in Loop: Header=BB25_32 Depth=1
	s_delay_alu instid0(VALU_DEP_2)
	v_bfe_u32 v12, v9, 23, 1
; %bb.119:                              ;   in Loop: Header=BB25_32 Depth=1
	s_or_b32 exec_lo, exec_lo, s0
	s_delay_alu instid0(VALU_DEP_3) | instskip(NEXT) | instid1(VALU_DEP_2)
	v_lshrrev_b64 v[9:10], 20, v[9:10]
	v_cmp_gt_i32_e32 vcc_lo, 16, v12
	v_and_b32_e32 v11, 0x80, v11
	v_min_i32_e32 v13, 15, v12
	v_cmp_eq_u32_e64 s0, 0, v12
	v_dual_cndmask_b32 v10, 0, v10 :: v_dual_cndmask_b32 v9, 7, v9
	s_delay_alu instid0(VALU_DEP_3) | instskip(NEXT) | instid1(VALU_DEP_2)
	v_lshl_or_b32 v11, v13, 3, v11
	v_cmp_eq_u64_e32 vcc_lo, 0, v[9:10]
	s_delay_alu instid0(VALU_DEP_2)
	v_and_or_b32 v9, v9, 7, v11
	s_and_b32 s0, s0, vcc_lo
	s_delay_alu instid0(VALU_DEP_1) | instid1(SALU_CYCLE_1)
	v_cndmask_b32_e64 v10, v9, 0, s0
.LBB25_120:                             ;   in Loop: Header=BB25_32 Depth=1
	s_or_b32 exec_lo, exec_lo, s16
.LBB25_121:                             ;   in Loop: Header=BB25_32 Depth=1
	s_and_not1_saveexec_b32 s0, s15
	s_delay_alu instid0(SALU_CYCLE_1)
	s_or_b32 exec_lo, exec_lo, s0
.LBB25_122:                             ;   in Loop: Header=BB25_32 Depth=1
	s_and_not1_saveexec_b32 s0, s14
	s_delay_alu instid0(SALU_CYCLE_1) | instskip(SKIP_4) | instid1(VALU_DEP_3)
	s_or_b32 exec_lo, exec_lo, s0
	v_and_b32_e32 v5, 0xffff0000, v5
	v_and_b32_e32 v1, 0xffff0000, v1
	v_add_nc_u32_e32 v11, 8, v22
	s_mov_b32 s0, exec_lo
	v_mul_f32_e32 v5, v21, v5
	global_store_b8 v11, v10, s[2:3]
	v_bfe_u32 v9, v5, 16, 1
	v_cmp_o_f32_e32 vcc_lo, v5, v5
	s_delay_alu instid0(VALU_DEP_2) | instskip(NEXT) | instid1(VALU_DEP_1)
	v_add3_u32 v9, v5, v9, 0x7fff
	v_and_b32_e32 v9, 0xffff0000, v9
	s_delay_alu instid0(VALU_DEP_1) | instskip(NEXT) | instid1(VALU_DEP_1)
	v_cndmask_b32_e32 v5, 0x7fc00000, v9, vcc_lo
	v_mul_f32_e32 v1, v5, v1
	s_delay_alu instid0(VALU_DEP_1) | instskip(SKIP_1) | instid1(VALU_DEP_2)
	v_bfe_u32 v5, v1, 16, 1
	v_cmp_o_f32_e32 vcc_lo, v1, v1
	v_add3_u32 v5, v1, v5, 0x7fff
	s_delay_alu instid0(VALU_DEP_1) | instskip(NEXT) | instid1(VALU_DEP_1)
	v_and_b32_e32 v5, 0xffff0000, v5
	v_cndmask_b32_e32 v1, 0x7fc00000, v5, vcc_lo
	s_delay_alu instid0(VALU_DEP_1) | instskip(NEXT) | instid1(VALU_DEP_1)
	v_mul_f32_e32 v1, v23, v1
	v_minmax_f32 v9, v1, s13, 0xc3600000
	s_delay_alu instid0(VALU_DEP_1) | instskip(SKIP_1) | instid1(VALU_DEP_2)
	v_lshrrev_b32_e32 v1, 24, v9
	v_and_b32_e32 v17, 0x7f800000, v9
	v_or_b32_e32 v5, 0x7f, v1
	s_delay_alu instid0(VALU_DEP_2)
	v_cmpx_ne_u64_e32 0x7f800000, v[17:18]
	s_xor_b32 s14, exec_lo, s0
	s_cbranch_execz .LBB25_132
; %bb.123:                              ;   in Loop: Header=BB25_32 Depth=1
	v_and_b32_e32 v17, 0x7fffffff, v9
	s_mov_b32 s0, exec_lo
	s_delay_alu instid0(VALU_DEP_1)
	v_cmpx_gt_u64_e32 0x43700001, v[17:18]
	s_xor_b32 s15, exec_lo, s0
	s_cbranch_execz .LBB25_131
; %bb.124:                              ;   in Loop: Header=BB25_32 Depth=1
	v_mov_b32_e32 v5, 0
	s_mov_b32 s16, exec_lo
	v_cmpx_ne_u32_e32 0, v9
	s_cbranch_execz .LBB25_130
; %bb.125:                              ;   in Loop: Header=BB25_32 Depth=1
	v_bfe_u32 v5, v9, 23, 8
	v_and_b32_e32 v9, 0x7fffff, v9
	s_delay_alu instid0(VALU_DEP_2) | instskip(SKIP_2) | instid1(VALU_DEP_3)
	v_sub_nc_u32_e64 v10, 0x78, v5 clamp
	v_cmp_eq_u32_e32 vcc_lo, 0, v5
	v_add_nc_u32_e32 v5, 0xffffff89, v5
	v_cndmask_b32_e64 v15, v10, 0x77, vcc_lo
	v_or_b32_e32 v10, 0x800000, v9
	s_delay_alu instid0(VALU_DEP_3) | instskip(NEXT) | instid1(VALU_DEP_3)
	v_cndmask_b32_e64 v5, v5, 0xffffff8a, vcc_lo
	v_add_nc_u32_e32 v11, 20, v15
	s_delay_alu instid0(VALU_DEP_3) | instskip(NEXT) | instid1(VALU_DEP_2)
	v_cndmask_b32_e32 v17, v10, v9, vcc_lo
	v_lshlrev_b64 v[9:10], v11, -1
	v_add_nc_u32_e32 v11, 19, v15
	s_delay_alu instid0(VALU_DEP_3) | instskip(SKIP_1) | instid1(VALU_DEP_3)
	v_lshrrev_b64 v[13:14], v15, v[17:18]
	v_mov_b32_e32 v10, v18
	v_lshlrev_b64 v[11:12], v11, 1
	v_not_b32_e32 v9, v9
	s_delay_alu instid0(VALU_DEP_1) | instskip(SKIP_1) | instid1(VALU_DEP_2)
	v_and_b32_e32 v9, v17, v9
	v_and_b32_e32 v17, 0x100000, v13
	v_cmp_eq_u64_e64 s0, v[9:10], v[11:12]
	s_delay_alu instid0(VALU_DEP_2) | instskip(SKIP_1) | instid1(VALU_DEP_1)
	v_cmp_eq_u64_e64 s1, 0, v[17:18]
	v_lshrrev_b32_e32 v9, 23, v13
	v_add3_u32 v11, v5, v15, v9
	s_delay_alu instid0(VALU_DEP_3) | instskip(SKIP_2) | instid1(VALU_DEP_2)
	s_and_b32 vcc_lo, s1, s0
	s_mov_b32 s0, exec_lo
	v_subrev_co_ci_u32_e32 v10, vcc_lo, 0, v13, vcc_lo
	v_add_nc_u32_e32 v12, -1, v11
	s_delay_alu instid0(VALU_DEP_2) | instskip(NEXT) | instid1(VALU_DEP_1)
	v_and_b32_e32 v5, 0xfffff, v10
	v_add_co_u32 v9, vcc_lo, v5, v13
	v_add_co_ci_u32_e32 v10, vcc_lo, 0, v14, vcc_lo
                                        ; implicit-def: $vgpr5
	s_delay_alu instid0(VALU_DEP_4)
	v_cmpx_ne_u32_e32 0, v12
	s_xor_b32 s0, exec_lo, s0
; %bb.126:                              ;   in Loop: Header=BB25_32 Depth=1
	s_delay_alu instid0(VALU_DEP_3) | instskip(SKIP_1) | instid1(VALU_DEP_2)
	v_and_b32_e32 v17, 0x1000000, v9
	v_bfe_u32 v5, v9, 24, 1
	v_cmp_eq_u64_e32 vcc_lo, 0, v[17:18]
	s_delay_alu instid0(VALU_DEP_2)
	v_lshrrev_b64 v[9:10], v5, v[9:10]
	v_cndmask_b32_e32 v5, v11, v12, vcc_lo
; %bb.127:                              ;   in Loop: Header=BB25_32 Depth=1
	s_and_not1_saveexec_b32 s0, s0
; %bb.128:                              ;   in Loop: Header=BB25_32 Depth=1
	s_delay_alu instid0(VALU_DEP_2)
	v_bfe_u32 v5, v9, 23, 1
; %bb.129:                              ;   in Loop: Header=BB25_32 Depth=1
	s_or_b32 exec_lo, exec_lo, s0
	s_delay_alu instid0(VALU_DEP_3) | instskip(NEXT) | instid1(VALU_DEP_2)
	v_lshrrev_b64 v[9:10], 20, v[9:10]
	v_cmp_gt_i32_e32 vcc_lo, 16, v5
	v_and_b32_e32 v1, 0x80, v1
	v_min_i32_e32 v11, 15, v5
	v_cmp_eq_u32_e64 s0, 0, v5
	v_dual_cndmask_b32 v10, 0, v10 :: v_dual_cndmask_b32 v9, 7, v9
	s_delay_alu instid0(VALU_DEP_3) | instskip(NEXT) | instid1(VALU_DEP_2)
	v_lshl_or_b32 v1, v11, 3, v1
	v_cmp_eq_u64_e32 vcc_lo, 0, v[9:10]
	s_delay_alu instid0(VALU_DEP_2)
	v_and_or_b32 v1, v9, 7, v1
	s_and_b32 s0, s0, vcc_lo
	s_delay_alu instid0(VALU_DEP_1) | instid1(SALU_CYCLE_1)
	v_cndmask_b32_e64 v5, v1, 0, s0
.LBB25_130:                             ;   in Loop: Header=BB25_32 Depth=1
	s_or_b32 exec_lo, exec_lo, s16
.LBB25_131:                             ;   in Loop: Header=BB25_32 Depth=1
	s_and_not1_saveexec_b32 s0, s15
	s_delay_alu instid0(SALU_CYCLE_1)
	s_or_b32 exec_lo, exec_lo, s0
.LBB25_132:                             ;   in Loop: Header=BB25_32 Depth=1
	s_and_not1_saveexec_b32 s0, s14
	s_delay_alu instid0(SALU_CYCLE_1) | instskip(SKIP_3) | instid1(VALU_DEP_2)
	s_or_b32 exec_lo, exec_lo, s0
	v_lshlrev_b32_e32 v1, 16, v6
	v_add_nc_u32_e32 v11, 9, v22
	s_mov_b32 s0, exec_lo
	v_mul_f32_e32 v1, v21, v1
	global_store_b8 v11, v5, s[2:3]
	v_bfe_u32 v9, v1, 16, 1
	v_cmp_o_f32_e32 vcc_lo, v1, v1
	s_delay_alu instid0(VALU_DEP_2) | instskip(NEXT) | instid1(VALU_DEP_1)
	v_add3_u32 v9, v1, v9, 0x7fff
	v_and_b32_e32 v9, 0xffff0000, v9
	s_delay_alu instid0(VALU_DEP_1) | instskip(SKIP_1) | instid1(VALU_DEP_1)
	v_cndmask_b32_e32 v1, 0x7fc00000, v9, vcc_lo
	v_lshlrev_b32_e32 v9, 16, v2
	v_mul_f32_e32 v1, v1, v9
	s_delay_alu instid0(VALU_DEP_1) | instskip(SKIP_1) | instid1(VALU_DEP_2)
	v_bfe_u32 v9, v1, 16, 1
	v_cmp_o_f32_e32 vcc_lo, v1, v1
	v_add3_u32 v9, v1, v9, 0x7fff
	s_delay_alu instid0(VALU_DEP_1) | instskip(NEXT) | instid1(VALU_DEP_1)
	v_and_b32_e32 v9, 0xffff0000, v9
	v_cndmask_b32_e32 v1, 0x7fc00000, v9, vcc_lo
	s_delay_alu instid0(VALU_DEP_1) | instskip(NEXT) | instid1(VALU_DEP_1)
	v_mul_f32_e32 v1, v23, v1
	v_minmax_f32 v10, v1, s13, 0xc3600000
	s_delay_alu instid0(VALU_DEP_1) | instskip(SKIP_1) | instid1(VALU_DEP_2)
	v_lshrrev_b32_e32 v1, 24, v10
	v_and_b32_e32 v17, 0x7f800000, v10
	v_or_b32_e32 v9, 0x7f, v1
	s_delay_alu instid0(VALU_DEP_2)
	v_cmpx_ne_u64_e32 0x7f800000, v[17:18]
	s_xor_b32 s14, exec_lo, s0
	s_cbranch_execz .LBB25_142
; %bb.133:                              ;   in Loop: Header=BB25_32 Depth=1
	v_and_b32_e32 v17, 0x7fffffff, v10
	s_mov_b32 s0, exec_lo
	s_delay_alu instid0(VALU_DEP_1)
	v_cmpx_gt_u64_e32 0x43700001, v[17:18]
	s_xor_b32 s15, exec_lo, s0
	s_cbranch_execz .LBB25_141
; %bb.134:                              ;   in Loop: Header=BB25_32 Depth=1
	v_mov_b32_e32 v9, 0
	s_mov_b32 s16, exec_lo
	v_cmpx_ne_u32_e32 0, v10
	s_cbranch_execz .LBB25_140
; %bb.135:                              ;   in Loop: Header=BB25_32 Depth=1
	v_bfe_u32 v5, v10, 23, 8
	v_and_b32_e32 v10, 0x7fffff, v10
	s_delay_alu instid0(VALU_DEP_2) | instskip(SKIP_2) | instid1(VALU_DEP_3)
	v_sub_nc_u32_e64 v9, 0x78, v5 clamp
	v_cmp_eq_u32_e32 vcc_lo, 0, v5
	v_add_nc_u32_e32 v5, 0xffffff89, v5
	v_cndmask_b32_e64 v15, v9, 0x77, vcc_lo
	v_or_b32_e32 v9, 0x800000, v10
	s_delay_alu instid0(VALU_DEP_3) | instskip(NEXT) | instid1(VALU_DEP_3)
	v_cndmask_b32_e64 v5, v5, 0xffffff8a, vcc_lo
	v_add_nc_u32_e32 v11, 20, v15
	s_delay_alu instid0(VALU_DEP_3) | instskip(NEXT) | instid1(VALU_DEP_2)
	v_cndmask_b32_e32 v17, v9, v10, vcc_lo
	v_lshlrev_b64 v[9:10], v11, -1
	v_add_nc_u32_e32 v11, 19, v15
	s_delay_alu instid0(VALU_DEP_3) | instskip(SKIP_1) | instid1(VALU_DEP_3)
	v_lshrrev_b64 v[13:14], v15, v[17:18]
	v_mov_b32_e32 v10, v18
	v_lshlrev_b64 v[11:12], v11, 1
	v_not_b32_e32 v9, v9
	s_delay_alu instid0(VALU_DEP_1) | instskip(SKIP_1) | instid1(VALU_DEP_2)
	v_and_b32_e32 v9, v17, v9
	v_and_b32_e32 v17, 0x100000, v13
	v_cmp_eq_u64_e64 s0, v[9:10], v[11:12]
	s_delay_alu instid0(VALU_DEP_2) | instskip(SKIP_1) | instid1(VALU_DEP_1)
	v_cmp_eq_u64_e64 s1, 0, v[17:18]
	v_lshrrev_b32_e32 v9, 23, v13
	v_add3_u32 v11, v5, v15, v9
	s_delay_alu instid0(VALU_DEP_3) | instskip(SKIP_2) | instid1(VALU_DEP_2)
	s_and_b32 vcc_lo, s1, s0
	s_mov_b32 s0, exec_lo
	v_subrev_co_ci_u32_e32 v10, vcc_lo, 0, v13, vcc_lo
	v_add_nc_u32_e32 v12, -1, v11
	s_delay_alu instid0(VALU_DEP_2) | instskip(NEXT) | instid1(VALU_DEP_1)
	v_and_b32_e32 v5, 0xfffff, v10
	v_add_co_u32 v9, vcc_lo, v5, v13
	v_add_co_ci_u32_e32 v10, vcc_lo, 0, v14, vcc_lo
                                        ; implicit-def: $vgpr5
	s_delay_alu instid0(VALU_DEP_4)
	v_cmpx_ne_u32_e32 0, v12
	s_xor_b32 s0, exec_lo, s0
; %bb.136:                              ;   in Loop: Header=BB25_32 Depth=1
	s_delay_alu instid0(VALU_DEP_3) | instskip(SKIP_1) | instid1(VALU_DEP_2)
	v_and_b32_e32 v17, 0x1000000, v9
	v_bfe_u32 v5, v9, 24, 1
	v_cmp_eq_u64_e32 vcc_lo, 0, v[17:18]
	s_delay_alu instid0(VALU_DEP_2)
	v_lshrrev_b64 v[9:10], v5, v[9:10]
	v_cndmask_b32_e32 v5, v11, v12, vcc_lo
; %bb.137:                              ;   in Loop: Header=BB25_32 Depth=1
	s_and_not1_saveexec_b32 s0, s0
; %bb.138:                              ;   in Loop: Header=BB25_32 Depth=1
	s_delay_alu instid0(VALU_DEP_2)
	v_bfe_u32 v5, v9, 23, 1
; %bb.139:                              ;   in Loop: Header=BB25_32 Depth=1
	s_or_b32 exec_lo, exec_lo, s0
	s_delay_alu instid0(VALU_DEP_3) | instskip(NEXT) | instid1(VALU_DEP_2)
	v_lshrrev_b64 v[9:10], 20, v[9:10]
	v_cmp_gt_i32_e32 vcc_lo, 16, v5
	v_and_b32_e32 v1, 0x80, v1
	v_min_i32_e32 v11, 15, v5
	v_cmp_eq_u32_e64 s0, 0, v5
	v_dual_cndmask_b32 v10, 0, v10 :: v_dual_cndmask_b32 v9, 7, v9
	s_delay_alu instid0(VALU_DEP_3) | instskip(NEXT) | instid1(VALU_DEP_2)
	v_lshl_or_b32 v1, v11, 3, v1
	v_cmp_eq_u64_e32 vcc_lo, 0, v[9:10]
	s_delay_alu instid0(VALU_DEP_2)
	v_and_or_b32 v1, v9, 7, v1
	s_and_b32 s0, s0, vcc_lo
	s_delay_alu instid0(VALU_DEP_1) | instid1(SALU_CYCLE_1)
	v_cndmask_b32_e64 v9, v1, 0, s0
.LBB25_140:                             ;   in Loop: Header=BB25_32 Depth=1
	s_or_b32 exec_lo, exec_lo, s16
.LBB25_141:                             ;   in Loop: Header=BB25_32 Depth=1
	s_and_not1_saveexec_b32 s0, s15
	s_delay_alu instid0(SALU_CYCLE_1)
	s_or_b32 exec_lo, exec_lo, s0
.LBB25_142:                             ;   in Loop: Header=BB25_32 Depth=1
	s_and_not1_saveexec_b32 s0, s14
	s_delay_alu instid0(SALU_CYCLE_1) | instskip(SKIP_3) | instid1(VALU_DEP_2)
	s_or_b32 exec_lo, exec_lo, s0
	v_and_b32_e32 v1, 0xffff0000, v6
	s_mov_b32 s0, exec_lo
	v_and_b32_e32 v2, 0xffff0000, v2
	v_dual_mul_f32 v1, v21, v1 :: v_dual_add_nc_u32 v6, 10, v22
	global_store_b8 v6, v9, s[2:3]
	v_bfe_u32 v5, v1, 16, 1
	v_cmp_o_f32_e32 vcc_lo, v1, v1
	s_delay_alu instid0(VALU_DEP_2) | instskip(NEXT) | instid1(VALU_DEP_1)
	v_add3_u32 v5, v1, v5, 0x7fff
	v_and_b32_e32 v5, 0xffff0000, v5
	s_delay_alu instid0(VALU_DEP_1) | instskip(NEXT) | instid1(VALU_DEP_1)
	v_cndmask_b32_e32 v1, 0x7fc00000, v5, vcc_lo
	v_mul_f32_e32 v1, v1, v2
	s_delay_alu instid0(VALU_DEP_1) | instskip(SKIP_1) | instid1(VALU_DEP_2)
	v_bfe_u32 v2, v1, 16, 1
	v_cmp_o_f32_e32 vcc_lo, v1, v1
	v_add3_u32 v2, v1, v2, 0x7fff
	s_delay_alu instid0(VALU_DEP_1) | instskip(NEXT) | instid1(VALU_DEP_1)
	v_and_b32_e32 v2, 0xffff0000, v2
	v_cndmask_b32_e32 v1, 0x7fc00000, v2, vcc_lo
	s_delay_alu instid0(VALU_DEP_1) | instskip(NEXT) | instid1(VALU_DEP_1)
	v_mul_f32_e32 v1, v23, v1
	v_minmax_f32 v2, v1, s13, 0xc3600000
	s_delay_alu instid0(VALU_DEP_1) | instskip(SKIP_1) | instid1(VALU_DEP_2)
	v_lshrrev_b32_e32 v5, 24, v2
	v_and_b32_e32 v17, 0x7f800000, v2
	v_or_b32_e32 v1, 0x7f, v5
	s_delay_alu instid0(VALU_DEP_2)
	v_cmpx_ne_u64_e32 0x7f800000, v[17:18]
	s_xor_b32 s14, exec_lo, s0
	s_cbranch_execz .LBB25_152
; %bb.143:                              ;   in Loop: Header=BB25_32 Depth=1
	v_and_b32_e32 v17, 0x7fffffff, v2
	s_mov_b32 s0, exec_lo
	s_delay_alu instid0(VALU_DEP_1)
	v_cmpx_gt_u64_e32 0x43700001, v[17:18]
	s_xor_b32 s15, exec_lo, s0
	s_cbranch_execz .LBB25_151
; %bb.144:                              ;   in Loop: Header=BB25_32 Depth=1
	v_mov_b32_e32 v1, 0
	s_mov_b32 s16, exec_lo
	v_cmpx_ne_u32_e32 0, v2
	s_cbranch_execz .LBB25_150
; %bb.145:                              ;   in Loop: Header=BB25_32 Depth=1
	v_bfe_u32 v6, v2, 23, 8
	v_and_b32_e32 v2, 0x7fffff, v2
	s_delay_alu instid0(VALU_DEP_2) | instskip(SKIP_2) | instid1(VALU_DEP_3)
	v_sub_nc_u32_e64 v1, 0x78, v6 clamp
	v_cmp_eq_u32_e32 vcc_lo, 0, v6
	v_add_nc_u32_e32 v6, 0xffffff89, v6
	v_cndmask_b32_e64 v13, v1, 0x77, vcc_lo
	v_or_b32_e32 v1, 0x800000, v2
	s_delay_alu instid0(VALU_DEP_2) | instskip(NEXT) | instid1(VALU_DEP_2)
	v_add_nc_u32_e32 v9, 20, v13
	v_cndmask_b32_e32 v17, v1, v2, vcc_lo
	s_delay_alu instid0(VALU_DEP_2) | instskip(SKIP_1) | instid1(VALU_DEP_3)
	v_lshlrev_b64 v[1:2], v9, -1
	v_add_nc_u32_e32 v9, 19, v13
	v_lshrrev_b64 v[11:12], v13, v[17:18]
	v_mov_b32_e32 v2, v18
	s_delay_alu instid0(VALU_DEP_3) | instskip(SKIP_1) | instid1(VALU_DEP_1)
	v_lshlrev_b64 v[9:10], v9, 1
	v_not_b32_e32 v1, v1
	v_and_b32_e32 v1, v17, v1
	v_and_b32_e32 v17, 0x100000, v11
	s_delay_alu instid0(VALU_DEP_2) | instskip(NEXT) | instid1(VALU_DEP_2)
	v_cmp_eq_u64_e64 s0, v[1:2], v[9:10]
	v_cmp_eq_u64_e64 s1, 0, v[17:18]
	v_cndmask_b32_e64 v1, v6, 0xffffff8a, vcc_lo
	v_lshrrev_b32_e32 v2, 23, v11
	s_delay_alu instid0(VALU_DEP_3) | instskip(NEXT) | instid1(VALU_DEP_1)
	s_and_b32 vcc_lo, s1, s0
	v_add3_u32 v9, v1, v13, v2
	v_subrev_co_ci_u32_e32 v6, vcc_lo, 0, v11, vcc_lo
	s_mov_b32 s0, exec_lo
	s_delay_alu instid0(VALU_DEP_2) | instskip(NEXT) | instid1(VALU_DEP_2)
	v_add_nc_u32_e32 v10, -1, v9
	v_and_b32_e32 v1, 0xfffff, v6
                                        ; implicit-def: $vgpr6
	s_delay_alu instid0(VALU_DEP_1) | instskip(SKIP_1) | instid1(VALU_DEP_4)
	v_add_co_u32 v1, vcc_lo, v1, v11
	v_add_co_ci_u32_e32 v2, vcc_lo, 0, v12, vcc_lo
	v_cmpx_ne_u32_e32 0, v10
	s_xor_b32 s0, exec_lo, s0
; %bb.146:                              ;   in Loop: Header=BB25_32 Depth=1
	s_delay_alu instid0(VALU_DEP_3) | instskip(SKIP_1) | instid1(VALU_DEP_2)
	v_and_b32_e32 v17, 0x1000000, v1
	v_bfe_u32 v6, v1, 24, 1
	v_cmp_eq_u64_e32 vcc_lo, 0, v[17:18]
	s_delay_alu instid0(VALU_DEP_2)
	v_lshrrev_b64 v[1:2], v6, v[1:2]
	v_cndmask_b32_e32 v6, v9, v10, vcc_lo
; %bb.147:                              ;   in Loop: Header=BB25_32 Depth=1
	s_and_not1_saveexec_b32 s0, s0
; %bb.148:                              ;   in Loop: Header=BB25_32 Depth=1
	s_delay_alu instid0(VALU_DEP_2)
	v_bfe_u32 v6, v1, 23, 1
; %bb.149:                              ;   in Loop: Header=BB25_32 Depth=1
	s_or_b32 exec_lo, exec_lo, s0
	s_delay_alu instid0(VALU_DEP_3) | instskip(NEXT) | instid1(VALU_DEP_2)
	v_lshrrev_b64 v[1:2], 20, v[1:2]
	v_cmp_gt_i32_e32 vcc_lo, 16, v6
	v_and_b32_e32 v5, 0x80, v5
	v_min_i32_e32 v9, 15, v6
	v_cmp_eq_u32_e64 s0, 0, v6
	v_dual_cndmask_b32 v2, 0, v2 :: v_dual_cndmask_b32 v1, 7, v1
	s_delay_alu instid0(VALU_DEP_3) | instskip(NEXT) | instid1(VALU_DEP_2)
	v_lshl_or_b32 v5, v9, 3, v5
	v_cmp_eq_u64_e32 vcc_lo, 0, v[1:2]
	s_delay_alu instid0(VALU_DEP_2)
	v_and_or_b32 v1, v1, 7, v5
	s_and_b32 s0, s0, vcc_lo
	s_delay_alu instid0(VALU_DEP_1) | instid1(SALU_CYCLE_1)
	v_cndmask_b32_e64 v1, v1, 0, s0
.LBB25_150:                             ;   in Loop: Header=BB25_32 Depth=1
	s_or_b32 exec_lo, exec_lo, s16
.LBB25_151:                             ;   in Loop: Header=BB25_32 Depth=1
	s_and_not1_saveexec_b32 s0, s15
	s_delay_alu instid0(SALU_CYCLE_1)
	s_or_b32 exec_lo, exec_lo, s0
.LBB25_152:                             ;   in Loop: Header=BB25_32 Depth=1
	s_and_not1_saveexec_b32 s0, s14
	s_delay_alu instid0(SALU_CYCLE_1) | instskip(SKIP_3) | instid1(VALU_DEP_2)
	s_or_b32 exec_lo, exec_lo, s0
	v_lshlrev_b32_e32 v2, 16, v7
	s_mov_b32 s0, exec_lo
	v_add_nc_u32_e32 v9, 11, v22
	v_mul_f32_e32 v2, v21, v2
	global_store_b8 v9, v1, s[2:3]
	v_bfe_u32 v5, v2, 16, 1
	s_delay_alu instid0(VALU_DEP_1) | instskip(NEXT) | instid1(VALU_DEP_1)
	v_add3_u32 v5, v2, v5, 0x7fff
	v_and_b32_e32 v5, 0xffff0000, v5
	v_cmp_o_f32_e32 vcc_lo, v2, v2
	s_delay_alu instid0(VALU_DEP_2) | instskip(NEXT) | instid1(VALU_DEP_1)
	v_dual_cndmask_b32 v2, 0x7fc00000, v5 :: v_dual_lshlrev_b32 v5, 16, v3
	v_mul_f32_e32 v2, v2, v5
	s_delay_alu instid0(VALU_DEP_1) | instskip(SKIP_1) | instid1(VALU_DEP_2)
	v_bfe_u32 v5, v2, 16, 1
	v_cmp_o_f32_e32 vcc_lo, v2, v2
	v_add3_u32 v5, v2, v5, 0x7fff
	s_delay_alu instid0(VALU_DEP_1) | instskip(NEXT) | instid1(VALU_DEP_1)
	v_and_b32_e32 v5, 0xffff0000, v5
	v_cndmask_b32_e32 v2, 0x7fc00000, v5, vcc_lo
	s_delay_alu instid0(VALU_DEP_1) | instskip(NEXT) | instid1(VALU_DEP_1)
	v_mul_f32_e32 v2, v23, v2
	v_minmax_f32 v6, v2, s13, 0xc3600000
	s_delay_alu instid0(VALU_DEP_1) | instskip(SKIP_1) | instid1(VALU_DEP_2)
	v_lshrrev_b32_e32 v5, 24, v6
	v_and_b32_e32 v17, 0x7f800000, v6
	v_or_b32_e32 v2, 0x7f, v5
	s_delay_alu instid0(VALU_DEP_2)
	v_cmpx_ne_u64_e32 0x7f800000, v[17:18]
	s_xor_b32 s14, exec_lo, s0
	s_cbranch_execz .LBB25_162
; %bb.153:                              ;   in Loop: Header=BB25_32 Depth=1
	v_and_b32_e32 v17, 0x7fffffff, v6
	s_mov_b32 s0, exec_lo
	s_delay_alu instid0(VALU_DEP_1)
	v_cmpx_gt_u64_e32 0x43700001, v[17:18]
	s_xor_b32 s15, exec_lo, s0
	s_cbranch_execz .LBB25_161
; %bb.154:                              ;   in Loop: Header=BB25_32 Depth=1
	v_mov_b32_e32 v2, 0
	s_mov_b32 s16, exec_lo
	v_cmpx_ne_u32_e32 0, v6
	s_cbranch_execz .LBB25_160
; %bb.155:                              ;   in Loop: Header=BB25_32 Depth=1
	v_bfe_u32 v13, v6, 23, 8
	v_and_b32_e32 v2, 0x7fffff, v6
	s_delay_alu instid0(VALU_DEP_2) | instskip(SKIP_2) | instid1(VALU_DEP_3)
	v_sub_nc_u32_e64 v1, 0x78, v13 clamp
	v_cmp_eq_u32_e32 vcc_lo, 0, v13
	v_add_nc_u32_e32 v13, 0xffffff89, v13
	v_cndmask_b32_e64 v6, v1, 0x77, vcc_lo
	v_or_b32_e32 v1, 0x800000, v2
	s_delay_alu instid0(VALU_DEP_2) | instskip(NEXT) | instid1(VALU_DEP_2)
	v_add_nc_u32_e32 v9, 20, v6
	v_cndmask_b32_e32 v17, v1, v2, vcc_lo
	s_delay_alu instid0(VALU_DEP_2) | instskip(SKIP_1) | instid1(VALU_DEP_3)
	v_lshlrev_b64 v[1:2], v9, -1
	v_add_nc_u32_e32 v9, 19, v6
	v_lshrrev_b64 v[11:12], v6, v[17:18]
	v_mov_b32_e32 v2, v18
	s_delay_alu instid0(VALU_DEP_3) | instskip(SKIP_1) | instid1(VALU_DEP_1)
	v_lshlrev_b64 v[9:10], v9, 1
	v_not_b32_e32 v1, v1
	v_and_b32_e32 v1, v17, v1
	v_and_b32_e32 v17, 0x100000, v11
	s_delay_alu instid0(VALU_DEP_2) | instskip(NEXT) | instid1(VALU_DEP_2)
	v_cmp_eq_u64_e64 s0, v[1:2], v[9:10]
	v_cmp_eq_u64_e64 s1, 0, v[17:18]
	v_cndmask_b32_e64 v1, v13, 0xffffff8a, vcc_lo
	v_lshrrev_b32_e32 v2, 23, v11
	s_delay_alu instid0(VALU_DEP_3) | instskip(NEXT) | instid1(VALU_DEP_1)
	s_and_b32 vcc_lo, s1, s0
	v_add3_u32 v9, v1, v6, v2
	v_subrev_co_ci_u32_e32 v10, vcc_lo, 0, v11, vcc_lo
	s_mov_b32 s0, exec_lo
                                        ; implicit-def: $vgpr6
	s_delay_alu instid0(VALU_DEP_1) | instskip(NEXT) | instid1(VALU_DEP_3)
	v_and_b32_e32 v1, 0xfffff, v10
	v_add_nc_u32_e32 v10, -1, v9
	s_delay_alu instid0(VALU_DEP_2) | instskip(SKIP_1) | instid1(VALU_DEP_3)
	v_add_co_u32 v1, vcc_lo, v1, v11
	v_add_co_ci_u32_e32 v2, vcc_lo, 0, v12, vcc_lo
	v_cmpx_ne_u32_e32 0, v10
	s_xor_b32 s0, exec_lo, s0
; %bb.156:                              ;   in Loop: Header=BB25_32 Depth=1
	s_delay_alu instid0(VALU_DEP_3) | instskip(SKIP_1) | instid1(VALU_DEP_2)
	v_and_b32_e32 v17, 0x1000000, v1
	v_bfe_u32 v6, v1, 24, 1
	v_cmp_eq_u64_e32 vcc_lo, 0, v[17:18]
	s_delay_alu instid0(VALU_DEP_2)
	v_lshrrev_b64 v[1:2], v6, v[1:2]
	v_cndmask_b32_e32 v6, v9, v10, vcc_lo
; %bb.157:                              ;   in Loop: Header=BB25_32 Depth=1
	s_and_not1_saveexec_b32 s0, s0
; %bb.158:                              ;   in Loop: Header=BB25_32 Depth=1
	s_delay_alu instid0(VALU_DEP_2)
	v_bfe_u32 v6, v1, 23, 1
; %bb.159:                              ;   in Loop: Header=BB25_32 Depth=1
	s_or_b32 exec_lo, exec_lo, s0
	s_delay_alu instid0(VALU_DEP_3) | instskip(NEXT) | instid1(VALU_DEP_2)
	v_lshrrev_b64 v[1:2], 20, v[1:2]
	v_cmp_gt_i32_e32 vcc_lo, 16, v6
	v_and_b32_e32 v5, 0x80, v5
	v_min_i32_e32 v9, 15, v6
	v_cmp_eq_u32_e64 s0, 0, v6
	v_dual_cndmask_b32 v2, 0, v2 :: v_dual_cndmask_b32 v1, 7, v1
	s_delay_alu instid0(VALU_DEP_3) | instskip(NEXT) | instid1(VALU_DEP_2)
	v_lshl_or_b32 v5, v9, 3, v5
	v_cmp_eq_u64_e32 vcc_lo, 0, v[1:2]
	s_delay_alu instid0(VALU_DEP_2)
	v_and_or_b32 v1, v1, 7, v5
	s_and_b32 s0, s0, vcc_lo
	s_delay_alu instid0(VALU_DEP_1) | instid1(SALU_CYCLE_1)
	v_cndmask_b32_e64 v2, v1, 0, s0
.LBB25_160:                             ;   in Loop: Header=BB25_32 Depth=1
	s_or_b32 exec_lo, exec_lo, s16
.LBB25_161:                             ;   in Loop: Header=BB25_32 Depth=1
	s_and_not1_saveexec_b32 s0, s15
	s_delay_alu instid0(SALU_CYCLE_1)
	s_or_b32 exec_lo, exec_lo, s0
.LBB25_162:                             ;   in Loop: Header=BB25_32 Depth=1
	s_and_not1_saveexec_b32 s0, s14
	s_delay_alu instid0(SALU_CYCLE_1) | instskip(SKIP_3) | instid1(VALU_DEP_2)
	s_or_b32 exec_lo, exec_lo, s0
	v_and_b32_e32 v1, 0xffff0000, v7
	v_and_b32_e32 v3, 0xffff0000, v3
	s_mov_b32 s0, exec_lo
	v_dual_mul_f32 v1, v21, v1 :: v_dual_add_nc_u32 v6, 12, v22
	global_store_b8 v6, v2, s[2:3]
	v_bfe_u32 v5, v1, 16, 1
	v_cmp_o_f32_e32 vcc_lo, v1, v1
	s_delay_alu instid0(VALU_DEP_2) | instskip(NEXT) | instid1(VALU_DEP_1)
	v_add3_u32 v5, v1, v5, 0x7fff
	v_and_b32_e32 v5, 0xffff0000, v5
	s_delay_alu instid0(VALU_DEP_1) | instskip(NEXT) | instid1(VALU_DEP_1)
	v_cndmask_b32_e32 v1, 0x7fc00000, v5, vcc_lo
	v_mul_f32_e32 v1, v1, v3
	s_delay_alu instid0(VALU_DEP_1) | instskip(SKIP_1) | instid1(VALU_DEP_2)
	v_bfe_u32 v3, v1, 16, 1
	v_cmp_o_f32_e32 vcc_lo, v1, v1
	v_add3_u32 v3, v1, v3, 0x7fff
	s_delay_alu instid0(VALU_DEP_1) | instskip(NEXT) | instid1(VALU_DEP_1)
	v_and_b32_e32 v3, 0xffff0000, v3
	v_cndmask_b32_e32 v1, 0x7fc00000, v3, vcc_lo
	s_delay_alu instid0(VALU_DEP_1) | instskip(NEXT) | instid1(VALU_DEP_1)
	v_mul_f32_e32 v1, v23, v1
	v_minmax_f32 v5, v1, s13, 0xc3600000
	s_delay_alu instid0(VALU_DEP_1) | instskip(SKIP_1) | instid1(VALU_DEP_2)
	v_lshrrev_b32_e32 v3, 24, v5
	v_and_b32_e32 v17, 0x7f800000, v5
	v_or_b32_e32 v1, 0x7f, v3
	s_delay_alu instid0(VALU_DEP_2)
	v_cmpx_ne_u64_e32 0x7f800000, v[17:18]
	s_xor_b32 s14, exec_lo, s0
	s_cbranch_execz .LBB25_172
; %bb.163:                              ;   in Loop: Header=BB25_32 Depth=1
	v_and_b32_e32 v17, 0x7fffffff, v5
	s_mov_b32 s0, exec_lo
	s_delay_alu instid0(VALU_DEP_1)
	v_cmpx_gt_u64_e32 0x43700001, v[17:18]
	s_xor_b32 s15, exec_lo, s0
	s_cbranch_execz .LBB25_171
; %bb.164:                              ;   in Loop: Header=BB25_32 Depth=1
	v_mov_b32_e32 v1, 0
	s_mov_b32 s16, exec_lo
	v_cmpx_ne_u32_e32 0, v5
	s_cbranch_execz .LBB25_170
; %bb.165:                              ;   in Loop: Header=BB25_32 Depth=1
	v_bfe_u32 v7, v5, 23, 8
	v_and_b32_e32 v2, 0x7fffff, v5
	s_delay_alu instid0(VALU_DEP_2) | instskip(SKIP_2) | instid1(VALU_DEP_3)
	v_sub_nc_u32_e64 v1, 0x78, v7 clamp
	v_cmp_eq_u32_e32 vcc_lo, 0, v7
	v_add_nc_u32_e32 v7, 0xffffff89, v7
	v_cndmask_b32_e64 v11, v1, 0x77, vcc_lo
	v_or_b32_e32 v1, 0x800000, v2
	s_delay_alu instid0(VALU_DEP_2) | instskip(NEXT) | instid1(VALU_DEP_2)
	v_add_nc_u32_e32 v5, 20, v11
	v_cndmask_b32_e32 v17, v1, v2, vcc_lo
	s_delay_alu instid0(VALU_DEP_2) | instskip(SKIP_1) | instid1(VALU_DEP_3)
	v_lshlrev_b64 v[1:2], v5, -1
	v_dual_mov_b32 v2, v18 :: v_dual_add_nc_u32 v5, 19, v11
	v_lshrrev_b64 v[9:10], v11, v[17:18]
	s_delay_alu instid0(VALU_DEP_3) | instskip(NEXT) | instid1(VALU_DEP_3)
	v_not_b32_e32 v1, v1
	v_lshlrev_b64 v[5:6], v5, 1
	s_delay_alu instid0(VALU_DEP_2) | instskip(NEXT) | instid1(VALU_DEP_4)
	v_and_b32_e32 v1, v17, v1
	v_and_b32_e32 v17, 0x100000, v9
	s_delay_alu instid0(VALU_DEP_2) | instskip(NEXT) | instid1(VALU_DEP_2)
	v_cmp_eq_u64_e64 s0, v[1:2], v[5:6]
	v_cmp_eq_u64_e64 s1, 0, v[17:18]
	v_cndmask_b32_e64 v1, v7, 0xffffff8a, vcc_lo
	v_lshrrev_b32_e32 v2, 23, v9
	s_delay_alu instid0(VALU_DEP_3) | instskip(NEXT) | instid1(VALU_DEP_1)
	s_and_b32 vcc_lo, s1, s0
	v_add3_u32 v6, v1, v11, v2
	v_subrev_co_ci_u32_e32 v5, vcc_lo, 0, v9, vcc_lo
	s_mov_b32 s0, exec_lo
	s_delay_alu instid0(VALU_DEP_2) | instskip(NEXT) | instid1(VALU_DEP_2)
	v_add_nc_u32_e32 v7, -1, v6
	v_and_b32_e32 v1, 0xfffff, v5
                                        ; implicit-def: $vgpr5
	s_delay_alu instid0(VALU_DEP_1) | instskip(SKIP_1) | instid1(VALU_DEP_4)
	v_add_co_u32 v1, vcc_lo, v1, v9
	v_add_co_ci_u32_e32 v2, vcc_lo, 0, v10, vcc_lo
	v_cmpx_ne_u32_e32 0, v7
	s_xor_b32 s0, exec_lo, s0
; %bb.166:                              ;   in Loop: Header=BB25_32 Depth=1
	s_delay_alu instid0(VALU_DEP_3) | instskip(SKIP_1) | instid1(VALU_DEP_2)
	v_and_b32_e32 v17, 0x1000000, v1
	v_bfe_u32 v5, v1, 24, 1
	v_cmp_eq_u64_e32 vcc_lo, 0, v[17:18]
	s_delay_alu instid0(VALU_DEP_2)
	v_lshrrev_b64 v[1:2], v5, v[1:2]
	v_cndmask_b32_e32 v5, v6, v7, vcc_lo
; %bb.167:                              ;   in Loop: Header=BB25_32 Depth=1
	s_and_not1_saveexec_b32 s0, s0
; %bb.168:                              ;   in Loop: Header=BB25_32 Depth=1
	s_delay_alu instid0(VALU_DEP_2)
	v_bfe_u32 v5, v1, 23, 1
; %bb.169:                              ;   in Loop: Header=BB25_32 Depth=1
	s_or_b32 exec_lo, exec_lo, s0
	s_delay_alu instid0(VALU_DEP_3) | instskip(NEXT) | instid1(VALU_DEP_2)
	v_lshrrev_b64 v[1:2], 20, v[1:2]
	v_cmp_gt_i32_e32 vcc_lo, 16, v5
	v_and_b32_e32 v3, 0x80, v3
	v_min_i32_e32 v6, 15, v5
	v_cmp_eq_u32_e64 s0, 0, v5
	v_dual_cndmask_b32 v2, 0, v2 :: v_dual_cndmask_b32 v1, 7, v1
	s_delay_alu instid0(VALU_DEP_3) | instskip(NEXT) | instid1(VALU_DEP_2)
	v_lshl_or_b32 v3, v6, 3, v3
	v_cmp_eq_u64_e32 vcc_lo, 0, v[1:2]
	s_delay_alu instid0(VALU_DEP_2)
	v_and_or_b32 v1, v1, 7, v3
	s_and_b32 s0, s0, vcc_lo
	s_delay_alu instid0(VALU_DEP_1) | instid1(SALU_CYCLE_1)
	v_cndmask_b32_e64 v1, v1, 0, s0
.LBB25_170:                             ;   in Loop: Header=BB25_32 Depth=1
	s_or_b32 exec_lo, exec_lo, s16
.LBB25_171:                             ;   in Loop: Header=BB25_32 Depth=1
	s_and_not1_saveexec_b32 s0, s15
	s_delay_alu instid0(SALU_CYCLE_1)
	s_or_b32 exec_lo, exec_lo, s0
.LBB25_172:                             ;   in Loop: Header=BB25_32 Depth=1
	s_and_not1_saveexec_b32 s0, s14
	s_delay_alu instid0(SALU_CYCLE_1) | instskip(SKIP_3) | instid1(VALU_DEP_2)
	s_or_b32 exec_lo, exec_lo, s0
	v_lshlrev_b32_e32 v2, 16, v8
	v_add_nc_u32_e32 v6, 13, v22
	s_mov_b32 s0, exec_lo
	v_mul_f32_e32 v2, v21, v2
	global_store_b8 v6, v1, s[2:3]
	v_bfe_u32 v3, v2, 16, 1
	s_delay_alu instid0(VALU_DEP_1) | instskip(NEXT) | instid1(VALU_DEP_1)
	v_add3_u32 v3, v2, v3, 0x7fff
	v_and_b32_e32 v3, 0xffff0000, v3
	v_cmp_o_f32_e32 vcc_lo, v2, v2
	s_delay_alu instid0(VALU_DEP_2) | instskip(NEXT) | instid1(VALU_DEP_1)
	v_dual_cndmask_b32 v2, 0x7fc00000, v3 :: v_dual_lshlrev_b32 v3, 16, v4
	v_mul_f32_e32 v2, v2, v3
	s_delay_alu instid0(VALU_DEP_1) | instskip(SKIP_1) | instid1(VALU_DEP_2)
	v_bfe_u32 v3, v2, 16, 1
	v_cmp_o_f32_e32 vcc_lo, v2, v2
	v_add3_u32 v3, v2, v3, 0x7fff
	s_delay_alu instid0(VALU_DEP_1) | instskip(NEXT) | instid1(VALU_DEP_1)
	v_and_b32_e32 v3, 0xffff0000, v3
	v_cndmask_b32_e32 v2, 0x7fc00000, v3, vcc_lo
	s_delay_alu instid0(VALU_DEP_1) | instskip(NEXT) | instid1(VALU_DEP_1)
	v_mul_f32_e32 v2, v23, v2
	v_minmax_f32 v5, v2, s13, 0xc3600000
	s_delay_alu instid0(VALU_DEP_1) | instskip(SKIP_1) | instid1(VALU_DEP_2)
	v_lshrrev_b32_e32 v3, 24, v5
	v_and_b32_e32 v17, 0x7f800000, v5
	v_or_b32_e32 v2, 0x7f, v3
	s_delay_alu instid0(VALU_DEP_2)
	v_cmpx_ne_u64_e32 0x7f800000, v[17:18]
	s_xor_b32 s14, exec_lo, s0
	s_cbranch_execz .LBB25_182
; %bb.173:                              ;   in Loop: Header=BB25_32 Depth=1
	v_and_b32_e32 v17, 0x7fffffff, v5
	s_mov_b32 s0, exec_lo
	s_delay_alu instid0(VALU_DEP_1)
	v_cmpx_gt_u64_e32 0x43700001, v[17:18]
	s_xor_b32 s15, exec_lo, s0
	s_cbranch_execz .LBB25_181
; %bb.174:                              ;   in Loop: Header=BB25_32 Depth=1
	v_mov_b32_e32 v2, 0
	s_mov_b32 s16, exec_lo
	v_cmpx_ne_u32_e32 0, v5
	s_cbranch_execz .LBB25_180
; %bb.175:                              ;   in Loop: Header=BB25_32 Depth=1
	v_bfe_u32 v7, v5, 23, 8
	v_and_b32_e32 v2, 0x7fffff, v5
	s_delay_alu instid0(VALU_DEP_2) | instskip(SKIP_2) | instid1(VALU_DEP_3)
	v_sub_nc_u32_e64 v1, 0x78, v7 clamp
	v_cmp_eq_u32_e32 vcc_lo, 0, v7
	v_add_nc_u32_e32 v7, 0xffffff89, v7
	v_cndmask_b32_e64 v11, v1, 0x77, vcc_lo
	v_or_b32_e32 v1, 0x800000, v2
	s_delay_alu instid0(VALU_DEP_2) | instskip(NEXT) | instid1(VALU_DEP_2)
	v_add_nc_u32_e32 v5, 20, v11
	v_cndmask_b32_e32 v17, v1, v2, vcc_lo
	s_delay_alu instid0(VALU_DEP_2) | instskip(SKIP_1) | instid1(VALU_DEP_3)
	v_lshlrev_b64 v[1:2], v5, -1
	v_dual_mov_b32 v2, v18 :: v_dual_add_nc_u32 v5, 19, v11
	v_lshrrev_b64 v[9:10], v11, v[17:18]
	s_delay_alu instid0(VALU_DEP_3) | instskip(NEXT) | instid1(VALU_DEP_3)
	v_not_b32_e32 v1, v1
	v_lshlrev_b64 v[5:6], v5, 1
	s_delay_alu instid0(VALU_DEP_2) | instskip(NEXT) | instid1(VALU_DEP_4)
	v_and_b32_e32 v1, v17, v1
	v_and_b32_e32 v17, 0x100000, v9
	s_delay_alu instid0(VALU_DEP_2) | instskip(NEXT) | instid1(VALU_DEP_2)
	v_cmp_eq_u64_e64 s0, v[1:2], v[5:6]
	v_cmp_eq_u64_e64 s1, 0, v[17:18]
	v_cndmask_b32_e64 v1, v7, 0xffffff8a, vcc_lo
	v_lshrrev_b32_e32 v2, 23, v9
	s_delay_alu instid0(VALU_DEP_3) | instskip(NEXT) | instid1(VALU_DEP_1)
	s_and_b32 vcc_lo, s1, s0
	v_add3_u32 v6, v1, v11, v2
	v_subrev_co_ci_u32_e32 v5, vcc_lo, 0, v9, vcc_lo
	s_mov_b32 s0, exec_lo
	s_delay_alu instid0(VALU_DEP_2) | instskip(NEXT) | instid1(VALU_DEP_2)
	v_add_nc_u32_e32 v7, -1, v6
	v_and_b32_e32 v1, 0xfffff, v5
                                        ; implicit-def: $vgpr5
	s_delay_alu instid0(VALU_DEP_1) | instskip(SKIP_1) | instid1(VALU_DEP_4)
	v_add_co_u32 v1, vcc_lo, v1, v9
	v_add_co_ci_u32_e32 v2, vcc_lo, 0, v10, vcc_lo
	v_cmpx_ne_u32_e32 0, v7
	s_xor_b32 s0, exec_lo, s0
; %bb.176:                              ;   in Loop: Header=BB25_32 Depth=1
	s_delay_alu instid0(VALU_DEP_3) | instskip(SKIP_1) | instid1(VALU_DEP_2)
	v_and_b32_e32 v17, 0x1000000, v1
	v_bfe_u32 v5, v1, 24, 1
	v_cmp_eq_u64_e32 vcc_lo, 0, v[17:18]
	s_delay_alu instid0(VALU_DEP_2)
	v_lshrrev_b64 v[1:2], v5, v[1:2]
	v_cndmask_b32_e32 v5, v6, v7, vcc_lo
; %bb.177:                              ;   in Loop: Header=BB25_32 Depth=1
	s_and_not1_saveexec_b32 s0, s0
; %bb.178:                              ;   in Loop: Header=BB25_32 Depth=1
	s_delay_alu instid0(VALU_DEP_2)
	v_bfe_u32 v5, v1, 23, 1
; %bb.179:                              ;   in Loop: Header=BB25_32 Depth=1
	s_or_b32 exec_lo, exec_lo, s0
	s_delay_alu instid0(VALU_DEP_3) | instskip(NEXT) | instid1(VALU_DEP_2)
	v_lshrrev_b64 v[1:2], 20, v[1:2]
	v_cmp_gt_i32_e32 vcc_lo, 16, v5
	v_and_b32_e32 v3, 0x80, v3
	v_min_i32_e32 v6, 15, v5
	v_cmp_eq_u32_e64 s0, 0, v5
	v_dual_cndmask_b32 v2, 0, v2 :: v_dual_cndmask_b32 v1, 7, v1
	s_delay_alu instid0(VALU_DEP_3) | instskip(NEXT) | instid1(VALU_DEP_2)
	v_lshl_or_b32 v3, v6, 3, v3
	v_cmp_eq_u64_e32 vcc_lo, 0, v[1:2]
	s_delay_alu instid0(VALU_DEP_2)
	v_and_or_b32 v1, v1, 7, v3
	s_and_b32 s0, s0, vcc_lo
	s_delay_alu instid0(VALU_DEP_1) | instid1(SALU_CYCLE_1)
	v_cndmask_b32_e64 v2, v1, 0, s0
.LBB25_180:                             ;   in Loop: Header=BB25_32 Depth=1
	s_or_b32 exec_lo, exec_lo, s16
.LBB25_181:                             ;   in Loop: Header=BB25_32 Depth=1
	s_and_not1_saveexec_b32 s0, s15
	s_delay_alu instid0(SALU_CYCLE_1)
	s_or_b32 exec_lo, exec_lo, s0
.LBB25_182:                             ;   in Loop: Header=BB25_32 Depth=1
	s_and_not1_saveexec_b32 s0, s14
	s_delay_alu instid0(SALU_CYCLE_1) | instskip(SKIP_3) | instid1(VALU_DEP_2)
	s_or_b32 exec_lo, exec_lo, s0
	v_and_b32_e32 v1, 0xffff0000, v8
	v_add_nc_u32_e32 v5, 14, v22
	s_mov_b32 s0, exec_lo
	v_mul_f32_e32 v1, v21, v1
	global_store_b8 v5, v2, s[2:3]
	v_bfe_u32 v3, v1, 16, 1
	v_cmp_o_f32_e32 vcc_lo, v1, v1
	s_delay_alu instid0(VALU_DEP_2) | instskip(NEXT) | instid1(VALU_DEP_1)
	v_add3_u32 v3, v1, v3, 0x7fff
	v_and_b32_e32 v3, 0xffff0000, v3
	s_delay_alu instid0(VALU_DEP_1) | instskip(SKIP_1) | instid1(VALU_DEP_1)
	v_cndmask_b32_e32 v1, 0x7fc00000, v3, vcc_lo
	v_and_b32_e32 v3, 0xffff0000, v4
	v_mul_f32_e32 v1, v1, v3
	s_delay_alu instid0(VALU_DEP_1) | instskip(SKIP_1) | instid1(VALU_DEP_2)
	v_bfe_u32 v3, v1, 16, 1
	v_cmp_o_f32_e32 vcc_lo, v1, v1
	v_add3_u32 v3, v1, v3, 0x7fff
	s_delay_alu instid0(VALU_DEP_1) | instskip(NEXT) | instid1(VALU_DEP_1)
	v_and_b32_e32 v3, 0xffff0000, v3
	v_cndmask_b32_e32 v1, 0x7fc00000, v3, vcc_lo
	s_delay_alu instid0(VALU_DEP_1) | instskip(NEXT) | instid1(VALU_DEP_1)
	v_mul_f32_e32 v1, v23, v1
	v_minmax_f32 v4, v1, s13, 0xc3600000
	s_delay_alu instid0(VALU_DEP_1) | instskip(SKIP_1) | instid1(VALU_DEP_2)
	v_lshrrev_b32_e32 v3, 24, v4
	v_and_b32_e32 v17, 0x7f800000, v4
	v_or_b32_e32 v1, 0x7f, v3
	s_delay_alu instid0(VALU_DEP_2)
	v_cmpx_ne_u64_e32 0x7f800000, v[17:18]
	s_xor_b32 s14, exec_lo, s0
	s_cbranch_execz .LBB25_31
; %bb.183:                              ;   in Loop: Header=BB25_32 Depth=1
	v_and_b32_e32 v17, 0x7fffffff, v4
	s_mov_b32 s0, exec_lo
	s_delay_alu instid0(VALU_DEP_1)
	v_cmpx_gt_u64_e32 0x43700001, v[17:18]
	s_xor_b32 s15, exec_lo, s0
	s_cbranch_execz .LBB25_30
; %bb.184:                              ;   in Loop: Header=BB25_32 Depth=1
	v_mov_b32_e32 v1, 0
	s_mov_b32 s16, exec_lo
	v_cmpx_ne_u32_e32 0, v4
	s_cbranch_execz .LBB25_29
; %bb.185:                              ;   in Loop: Header=BB25_32 Depth=1
	v_bfe_u32 v6, v4, 23, 8
	v_and_b32_e32 v2, 0x7fffff, v4
	s_delay_alu instid0(VALU_DEP_2) | instskip(SKIP_2) | instid1(VALU_DEP_3)
	v_sub_nc_u32_e64 v1, 0x78, v6 clamp
	v_cmp_eq_u32_e32 vcc_lo, 0, v6
	v_add_nc_u32_e32 v6, 0xffffff89, v6
	v_cndmask_b32_e64 v9, v1, 0x77, vcc_lo
	v_or_b32_e32 v1, 0x800000, v2
	s_delay_alu instid0(VALU_DEP_1) | instskip(NEXT) | instid1(VALU_DEP_1)
	v_dual_cndmask_b32 v17, v1, v2 :: v_dual_add_nc_u32 v4, 20, v9
	v_lshlrev_b64 v[1:2], v4, -1
	v_add_nc_u32_e32 v4, 19, v9
	s_delay_alu instid0(VALU_DEP_3) | instskip(NEXT) | instid1(VALU_DEP_2)
	v_lshrrev_b64 v[7:8], v9, v[17:18]
	v_lshlrev_b64 v[4:5], v4, 1
	s_delay_alu instid0(VALU_DEP_4) | instskip(NEXT) | instid1(VALU_DEP_1)
	v_not_b32_e32 v1, v1
	v_dual_mov_b32 v2, v18 :: v_dual_and_b32 v1, v17, v1
	s_delay_alu instid0(VALU_DEP_4) | instskip(NEXT) | instid1(VALU_DEP_2)
	v_and_b32_e32 v17, 0x100000, v7
	v_cmp_eq_u64_e64 s0, v[1:2], v[4:5]
	s_delay_alu instid0(VALU_DEP_2) | instskip(SKIP_2) | instid1(VALU_DEP_3)
	v_cmp_eq_u64_e64 s1, 0, v[17:18]
	v_cndmask_b32_e64 v1, v6, 0xffffff8a, vcc_lo
	v_lshrrev_b32_e32 v2, 23, v7
	s_and_b32 vcc_lo, s1, s0
	s_delay_alu instid0(VALU_DEP_1) | instskip(SKIP_2) | instid1(VALU_DEP_2)
	v_add3_u32 v5, v1, v9, v2
	v_subrev_co_ci_u32_e32 v4, vcc_lo, 0, v7, vcc_lo
	s_mov_b32 s0, exec_lo
	v_add_nc_u32_e32 v6, -1, v5
	s_delay_alu instid0(VALU_DEP_2) | instskip(NEXT) | instid1(VALU_DEP_1)
	v_and_b32_e32 v1, 0xfffff, v4
                                        ; implicit-def: $vgpr4
	v_add_co_u32 v1, vcc_lo, v1, v7
	v_add_co_ci_u32_e32 v2, vcc_lo, 0, v8, vcc_lo
	s_delay_alu instid0(VALU_DEP_4)
	v_cmpx_ne_u32_e32 0, v6
	s_xor_b32 s0, exec_lo, s0
; %bb.186:                              ;   in Loop: Header=BB25_32 Depth=1
	s_delay_alu instid0(VALU_DEP_3) | instskip(SKIP_1) | instid1(VALU_DEP_2)
	v_and_b32_e32 v17, 0x1000000, v1
	v_bfe_u32 v4, v1, 24, 1
	v_cmp_eq_u64_e32 vcc_lo, 0, v[17:18]
	s_delay_alu instid0(VALU_DEP_2)
	v_lshrrev_b64 v[1:2], v4, v[1:2]
	v_cndmask_b32_e32 v4, v5, v6, vcc_lo
; %bb.187:                              ;   in Loop: Header=BB25_32 Depth=1
	s_and_not1_saveexec_b32 s0, s0
	s_cbranch_execz .LBB25_28
; %bb.188:                              ;   in Loop: Header=BB25_32 Depth=1
	s_delay_alu instid0(VALU_DEP_2)
	v_bfe_u32 v4, v1, 23, 1
	s_branch .LBB25_28
.LBB25_189:
	s_nop 0
	s_sendmsg sendmsg(MSG_DEALLOC_VGPRS)
	s_endpgm
	.section	.rodata,"a",@progbits
	.p2align	6, 0x0
	.amdhsa_kernel _ZN4vllm32rms_norm_static_fp8_quant_kernelIN3c108BFloat16ENS1_15Float8_e4m3fnuzELi16EEEvPT0_PKT_iS8_PKffii
		.amdhsa_group_segment_fixed_size 132
		.amdhsa_private_segment_fixed_size 0
		.amdhsa_kernarg_size 312
		.amdhsa_user_sgpr_count 15
		.amdhsa_user_sgpr_dispatch_ptr 0
		.amdhsa_user_sgpr_queue_ptr 0
		.amdhsa_user_sgpr_kernarg_segment_ptr 1
		.amdhsa_user_sgpr_dispatch_id 0
		.amdhsa_user_sgpr_private_segment_size 0
		.amdhsa_wavefront_size32 1
		.amdhsa_uses_dynamic_stack 0
		.amdhsa_enable_private_segment 0
		.amdhsa_system_sgpr_workgroup_id_x 1
		.amdhsa_system_sgpr_workgroup_id_y 0
		.amdhsa_system_sgpr_workgroup_id_z 0
		.amdhsa_system_sgpr_workgroup_info 0
		.amdhsa_system_vgpr_workitem_id 0
		.amdhsa_next_free_vgpr 32
		.amdhsa_next_free_sgpr 20
		.amdhsa_reserve_vcc 1
		.amdhsa_float_round_mode_32 0
		.amdhsa_float_round_mode_16_64 0
		.amdhsa_float_denorm_mode_32 3
		.amdhsa_float_denorm_mode_16_64 3
		.amdhsa_dx10_clamp 1
		.amdhsa_ieee_mode 1
		.amdhsa_fp16_overflow 0
		.amdhsa_workgroup_processor_mode 1
		.amdhsa_memory_ordered 1
		.amdhsa_forward_progress 0
		.amdhsa_shared_vgpr_count 0
		.amdhsa_exception_fp_ieee_invalid_op 0
		.amdhsa_exception_fp_denorm_src 0
		.amdhsa_exception_fp_ieee_div_zero 0
		.amdhsa_exception_fp_ieee_overflow 0
		.amdhsa_exception_fp_ieee_underflow 0
		.amdhsa_exception_fp_ieee_inexact 0
		.amdhsa_exception_int_div_zero 0
	.end_amdhsa_kernel
	.section	.text._ZN4vllm32rms_norm_static_fp8_quant_kernelIN3c108BFloat16ENS1_15Float8_e4m3fnuzELi16EEEvPT0_PKT_iS8_PKffii,"axG",@progbits,_ZN4vllm32rms_norm_static_fp8_quant_kernelIN3c108BFloat16ENS1_15Float8_e4m3fnuzELi16EEEvPT0_PKT_iS8_PKffii,comdat
.Lfunc_end25:
	.size	_ZN4vllm32rms_norm_static_fp8_quant_kernelIN3c108BFloat16ENS1_15Float8_e4m3fnuzELi16EEEvPT0_PKT_iS8_PKffii, .Lfunc_end25-_ZN4vllm32rms_norm_static_fp8_quant_kernelIN3c108BFloat16ENS1_15Float8_e4m3fnuzELi16EEEvPT0_PKT_iS8_PKffii
                                        ; -- End function
	.section	.AMDGPU.csdata,"",@progbits
; Kernel info:
; codeLenInByte = 12760
; NumSgprs: 22
; NumVgprs: 32
; ScratchSize: 0
; MemoryBound: 0
; FloatMode: 240
; IeeeMode: 1
; LDSByteSize: 132 bytes/workgroup (compile time only)
; SGPRBlocks: 2
; VGPRBlocks: 3
; NumSGPRsForWavesPerEU: 22
; NumVGPRsForWavesPerEU: 32
; Occupancy: 16
; WaveLimiterHint : 0
; COMPUTE_PGM_RSRC2:SCRATCH_EN: 0
; COMPUTE_PGM_RSRC2:USER_SGPR: 15
; COMPUTE_PGM_RSRC2:TRAP_HANDLER: 0
; COMPUTE_PGM_RSRC2:TGID_X_EN: 1
; COMPUTE_PGM_RSRC2:TGID_Y_EN: 0
; COMPUTE_PGM_RSRC2:TGID_Z_EN: 0
; COMPUTE_PGM_RSRC2:TIDIG_COMP_CNT: 0
	.section	.text._ZN4vllm32rms_norm_static_fp8_quant_kernelIN3c108BFloat16ENS1_15Float8_e4m3fnuzELi8EEEvPT0_PKT_iS8_PKffii,"axG",@progbits,_ZN4vllm32rms_norm_static_fp8_quant_kernelIN3c108BFloat16ENS1_15Float8_e4m3fnuzELi8EEEvPT0_PKT_iS8_PKffii,comdat
	.protected	_ZN4vllm32rms_norm_static_fp8_quant_kernelIN3c108BFloat16ENS1_15Float8_e4m3fnuzELi8EEEvPT0_PKT_iS8_PKffii ; -- Begin function _ZN4vllm32rms_norm_static_fp8_quant_kernelIN3c108BFloat16ENS1_15Float8_e4m3fnuzELi8EEEvPT0_PKT_iS8_PKffii
	.globl	_ZN4vllm32rms_norm_static_fp8_quant_kernelIN3c108BFloat16ENS1_15Float8_e4m3fnuzELi8EEEvPT0_PKT_iS8_PKffii
	.p2align	8
	.type	_ZN4vllm32rms_norm_static_fp8_quant_kernelIN3c108BFloat16ENS1_15Float8_e4m3fnuzELi8EEEvPT0_PKT_iS8_PKffii,@function
_ZN4vllm32rms_norm_static_fp8_quant_kernelIN3c108BFloat16ENS1_15Float8_e4m3fnuzELi8EEEvPT0_PKT_iS8_PKffii: ; @_ZN4vllm32rms_norm_static_fp8_quant_kernelIN3c108BFloat16ENS1_15Float8_e4m3fnuzELi8EEEvPT0_PKT_iS8_PKffii
; %bb.0:
	s_clause 0x3
	s_load_b32 s2, s[0:1], 0x10
	s_load_b64 s[4:5], s[0:1], 0x8
	s_load_b32 s8, s[0:1], 0x44
	s_load_b32 s13, s[0:1], 0x30
	s_mov_b32 s3, 0
	s_waitcnt lgkmcnt(0)
	s_mul_i32 s2, s15, s2
	s_delay_alu instid0(SALU_CYCLE_1) | instskip(NEXT) | instid1(SALU_CYCLE_1)
	s_lshl_b64 s[6:7], s[2:3], 1
	s_add_u32 s10, s4, s6
	s_addc_u32 s11, s5, s7
	s_and_b32 s2, s10, 15
	s_and_b32 s12, s8, 0xffff
	s_cmp_lg_u64 s[2:3], 0
	s_cselect_b32 s2, -1, 0
	s_and_b32 s3, s13, 7
	s_delay_alu instid0(SALU_CYCLE_1) | instskip(SKIP_1) | instid1(SALU_CYCLE_1)
	s_cmp_lg_u32 s3, 0
	s_cselect_b32 s3, -1, 0
	s_or_b32 s2, s2, s3
	s_delay_alu instid0(SALU_CYCLE_1)
	s_and_b32 vcc_lo, exec_lo, s2
	s_cbranch_vccz .LBB26_14
; %bb.1:
	s_sub_i32 s2, 0, s10
	v_mov_b32_e32 v4, 0
	s_bfe_u32 s2, s2, 0x30001
	s_mov_b32 s3, exec_lo
	s_min_i32 s8, s2, s13
	s_delay_alu instid0(SALU_CYCLE_1)
	v_cmpx_gt_i32_e64 s8, v0
	s_cbranch_execz .LBB26_5
; %bb.2:
	v_dual_mov_b32 v4, 0 :: v_dual_lshlrev_b32 v1, 1, v0
	s_add_u32 s2, s4, s6
	s_addc_u32 s9, s5, s7
	v_mov_b32_e32 v3, v0
	s_delay_alu instid0(VALU_DEP_2) | instskip(NEXT) | instid1(VALU_DEP_1)
	v_add_co_u32 v1, s2, s2, v1
	v_add_co_ci_u32_e64 v2, null, s9, 0, s2
	s_mov_b32 s9, 0
	s_lshl_b32 s14, s12, 1
.LBB26_3:                               ; =>This Inner Loop Header: Depth=1
	global_load_u16 v5, v[1:2], off
	v_add_co_u32 v1, vcc_lo, v1, s14
	v_add_co_ci_u32_e32 v2, vcc_lo, 0, v2, vcc_lo
	s_waitcnt vmcnt(0)
	v_lshlrev_b32_e32 v5, 16, v5
	s_delay_alu instid0(VALU_DEP_1) | instskip(NEXT) | instid1(VALU_DEP_1)
	v_dual_fmac_f32 v4, v5, v5 :: v_dual_add_nc_u32 v3, s12, v3
	v_cmp_le_i32_e64 s2, s8, v3
	s_delay_alu instid0(VALU_DEP_1) | instskip(NEXT) | instid1(SALU_CYCLE_1)
	s_or_b32 s9, s2, s9
	s_and_not1_b32 exec_lo, exec_lo, s9
	s_cbranch_execnz .LBB26_3
; %bb.4:
	s_or_b32 exec_lo, exec_lo, s9
.LBB26_5:
	s_delay_alu instid0(SALU_CYCLE_1)
	s_or_b32 exec_lo, exec_lo, s3
	s_sub_i32 s3, s13, s8
	s_ashr_i32 s9, s8, 31
	s_ashr_i32 s2, s3, 31
	s_mov_b32 s16, exec_lo
	s_lshr_b32 s2, s2, 29
	s_delay_alu instid0(SALU_CYCLE_1) | instskip(NEXT) | instid1(SALU_CYCLE_1)
	s_add_i32 s2, s3, s2
	s_ashr_i32 s14, s2, 3
	s_delay_alu instid0(SALU_CYCLE_1)
	v_cmpx_gt_i32_e64 s14, v0
	s_cbranch_execz .LBB26_9
; %bb.6:
	v_lshlrev_b32_e32 v1, 4, v0
	s_lshl_b64 s[18:19], s[8:9], 1
	s_add_u32 s2, s4, s6
	s_addc_u32 s17, s5, s7
	s_add_u32 s2, s2, s18
	s_addc_u32 s17, s17, s19
	v_add_co_u32 v1, s2, s2, v1
	s_delay_alu instid0(VALU_DEP_1) | instskip(SKIP_1) | instid1(VALU_DEP_3)
	v_add_co_ci_u32_e64 v2, null, s17, 0, s2
	v_mov_b32_e32 v3, v0
	v_add_co_u32 v1, vcc_lo, v1, 8
	s_delay_alu instid0(VALU_DEP_3)
	v_add_co_ci_u32_e32 v2, vcc_lo, 0, v2, vcc_lo
	s_mov_b32 s17, 0
	s_lshl_b32 s18, s12, 4
	.p2align	6
.LBB26_7:                               ; =>This Inner Loop Header: Depth=1
	global_load_b128 v[5:8], v[1:2], off offset:-8
	v_add_co_u32 v1, vcc_lo, v1, s18
	v_add_co_ci_u32_e32 v2, vcc_lo, 0, v2, vcc_lo
	v_add_nc_u32_e32 v3, s12, v3
	s_delay_alu instid0(VALU_DEP_1) | instskip(NEXT) | instid1(VALU_DEP_1)
	v_cmp_le_i32_e64 s2, s14, v3
	s_or_b32 s17, s2, s17
	s_waitcnt vmcnt(0)
	v_lshlrev_b32_e32 v9, 16, v5
	v_and_b32_e32 v5, 0xffff0000, v5
	s_delay_alu instid0(VALU_DEP_2) | instskip(NEXT) | instid1(VALU_DEP_1)
	v_dual_fmac_f32 v4, v9, v9 :: v_dual_lshlrev_b32 v9, 16, v6
	v_dual_fmac_f32 v4, v5, v5 :: v_dual_and_b32 v5, 0xffff0000, v6
	v_lshlrev_b32_e32 v6, 16, v7
	s_delay_alu instid0(VALU_DEP_2) | instskip(NEXT) | instid1(VALU_DEP_1)
	v_fmac_f32_e32 v4, v9, v9
	v_dual_fmac_f32 v4, v5, v5 :: v_dual_and_b32 v5, 0xffff0000, v7
	s_delay_alu instid0(VALU_DEP_1) | instskip(SKIP_1) | instid1(VALU_DEP_2)
	v_fmac_f32_e32 v4, v6, v6
	v_lshlrev_b32_e32 v6, 16, v8
	v_dual_fmac_f32 v4, v5, v5 :: v_dual_and_b32 v5, 0xffff0000, v8
	s_delay_alu instid0(VALU_DEP_1) | instskip(NEXT) | instid1(VALU_DEP_1)
	v_fmac_f32_e32 v4, v6, v6
	v_fmac_f32_e32 v4, v5, v5
	s_and_not1_b32 exec_lo, exec_lo, s17
	s_cbranch_execnz .LBB26_7
; %bb.8:
	s_or_b32 exec_lo, exec_lo, s17
.LBB26_9:
	s_delay_alu instid0(SALU_CYCLE_1) | instskip(SKIP_2) | instid1(VALU_DEP_1)
	s_or_b32 exec_lo, exec_lo, s16
	v_lshl_add_u32 v1, s14, 3, v0
	s_mov_b32 s14, exec_lo
	v_cmpx_gt_i32_e64 s3, v1
	s_cbranch_execz .LBB26_13
; %bb.10:
	v_ashrrev_i32_e32 v2, 31, v1
	s_lshl_b64 s[8:9], s[8:9], 1
	s_add_u32 s2, s4, s6
	s_addc_u32 s16, s5, s7
	s_add_u32 s2, s2, s8
	v_lshlrev_b64 v[2:3], 1, v[1:2]
	s_addc_u32 s8, s16, s9
	s_lshl_b32 s9, s12, 1
	s_delay_alu instid0(VALU_DEP_1) | instskip(NEXT) | instid1(VALU_DEP_2)
	v_add_co_u32 v2, vcc_lo, s2, v2
	v_add_co_ci_u32_e32 v3, vcc_lo, s8, v3, vcc_lo
	s_mov_b32 s8, 0
.LBB26_11:                              ; =>This Inner Loop Header: Depth=1
	global_load_u16 v5, v[2:3], off
	v_add_nc_u32_e32 v1, s12, v1
	v_add_co_u32 v2, vcc_lo, v2, s9
	v_add_co_ci_u32_e32 v3, vcc_lo, 0, v3, vcc_lo
	s_delay_alu instid0(VALU_DEP_3) | instskip(NEXT) | instid1(VALU_DEP_1)
	v_cmp_le_i32_e64 s2, s3, v1
	s_or_b32 s8, s2, s8
	s_waitcnt vmcnt(0)
	v_lshlrev_b32_e32 v5, 16, v5
	s_delay_alu instid0(VALU_DEP_1)
	v_fmac_f32_e32 v4, v5, v5
	s_and_not1_b32 exec_lo, exec_lo, s8
	s_cbranch_execnz .LBB26_11
; %bb.12:
	s_or_b32 exec_lo, exec_lo, s8
.LBB26_13:
	s_delay_alu instid0(SALU_CYCLE_1)
	s_or_b32 exec_lo, exec_lo, s14
	s_branch .LBB26_20
.LBB26_14:
                                        ; implicit-def: $vgpr4
	s_cbranch_execz .LBB26_20
; %bb.15:
	v_mov_b32_e32 v4, 0
	s_ashr_i32 s8, s13, 3
	s_mov_b32 s3, exec_lo
	v_cmpx_gt_i32_e64 s8, v0
	s_cbranch_execz .LBB26_19
; %bb.16:
	v_dual_mov_b32 v4, 0 :: v_dual_lshlrev_b32 v1, 4, v0
	s_add_u32 s2, s4, s6
	s_addc_u32 s4, s5, s7
	v_mov_b32_e32 v3, v0
	s_delay_alu instid0(VALU_DEP_2) | instskip(NEXT) | instid1(VALU_DEP_1)
	v_add_co_u32 v1, s2, s2, v1
	v_add_co_ci_u32_e64 v2, null, s4, 0, s2
	s_mov_b32 s4, 0
	s_delay_alu instid0(VALU_DEP_2) | instskip(NEXT) | instid1(VALU_DEP_2)
	v_add_co_u32 v1, vcc_lo, v1, 8
	v_add_co_ci_u32_e32 v2, vcc_lo, 0, v2, vcc_lo
	s_lshl_b32 s5, s12, 4
	.p2align	6
.LBB26_17:                              ; =>This Inner Loop Header: Depth=1
	global_load_b128 v[5:8], v[1:2], off offset:-8
	v_add_co_u32 v1, vcc_lo, v1, s5
	v_add_co_ci_u32_e32 v2, vcc_lo, 0, v2, vcc_lo
	v_add_nc_u32_e32 v3, s12, v3
	s_delay_alu instid0(VALU_DEP_1) | instskip(NEXT) | instid1(VALU_DEP_1)
	v_cmp_le_i32_e64 s2, s8, v3
	s_or_b32 s4, s2, s4
	s_waitcnt vmcnt(0)
	v_lshlrev_b32_e32 v9, 16, v5
	v_and_b32_e32 v5, 0xffff0000, v5
	s_delay_alu instid0(VALU_DEP_2) | instskip(NEXT) | instid1(VALU_DEP_1)
	v_dual_fmac_f32 v4, v9, v9 :: v_dual_lshlrev_b32 v9, 16, v6
	v_dual_fmac_f32 v4, v5, v5 :: v_dual_and_b32 v5, 0xffff0000, v6
	v_lshlrev_b32_e32 v6, 16, v7
	s_delay_alu instid0(VALU_DEP_2) | instskip(NEXT) | instid1(VALU_DEP_1)
	v_fmac_f32_e32 v4, v9, v9
	v_dual_fmac_f32 v4, v5, v5 :: v_dual_and_b32 v5, 0xffff0000, v7
	s_delay_alu instid0(VALU_DEP_1) | instskip(SKIP_1) | instid1(VALU_DEP_2)
	v_fmac_f32_e32 v4, v6, v6
	v_lshlrev_b32_e32 v6, 16, v8
	v_dual_fmac_f32 v4, v5, v5 :: v_dual_and_b32 v5, 0xffff0000, v8
	s_delay_alu instid0(VALU_DEP_1) | instskip(NEXT) | instid1(VALU_DEP_1)
	v_fmac_f32_e32 v4, v6, v6
	v_fmac_f32_e32 v4, v5, v5
	s_and_not1_b32 exec_lo, exec_lo, s4
	s_cbranch_execnz .LBB26_17
; %bb.18:
	s_or_b32 exec_lo, exec_lo, s4
.LBB26_19:
	s_delay_alu instid0(SALU_CYCLE_1)
	s_or_b32 exec_lo, exec_lo, s3
.LBB26_20:
	v_mbcnt_lo_u32_b32 v1, -1, 0
	v_and_b32_e32 v3, 0x3e0, v0
	s_mov_b32 s2, exec_lo
	s_delay_alu instid0(VALU_DEP_2) | instskip(NEXT) | instid1(VALU_DEP_2)
	v_cmp_ne_u32_e32 vcc_lo, 31, v1
	v_sub_nc_u32_e64 v12, s12, v3 clamp
	v_add_nc_u32_e32 v3, 1, v1
	v_add_co_ci_u32_e32 v2, vcc_lo, 0, v1, vcc_lo
	v_cmp_gt_u32_e32 vcc_lo, 30, v1
	s_delay_alu instid0(VALU_DEP_2)
	v_lshlrev_b32_e32 v2, 2, v2
	v_cndmask_b32_e64 v6, 0, 1, vcc_lo
	v_cmp_lt_u32_e32 vcc_lo, v3, v12
	ds_bpermute_b32 v5, v2, v4
	s_waitcnt lgkmcnt(0)
	v_dual_add_f32 v7, v4, v5 :: v_dual_lshlrev_b32 v6, 1, v6
	s_delay_alu instid0(VALU_DEP_1) | instskip(NEXT) | instid1(VALU_DEP_2)
	v_cndmask_b32_e32 v7, v4, v7, vcc_lo
	v_add_lshl_u32 v5, v6, v1, 2
	v_cmp_gt_u32_e32 vcc_lo, 28, v1
	ds_bpermute_b32 v6, v5, v7
	v_cndmask_b32_e64 v4, 0, 1, vcc_lo
	s_delay_alu instid0(VALU_DEP_1) | instskip(SKIP_1) | instid1(VALU_DEP_1)
	v_lshlrev_b32_e32 v8, 2, v4
	v_add_nc_u32_e32 v4, 2, v1
	v_cmp_lt_u32_e32 vcc_lo, v4, v12
	s_waitcnt lgkmcnt(0)
	v_add_f32_e32 v9, v7, v6
	v_add_lshl_u32 v6, v8, v1, 2
	s_delay_alu instid0(VALU_DEP_2) | instskip(SKIP_2) | instid1(VALU_DEP_1)
	v_cndmask_b32_e32 v9, v7, v9, vcc_lo
	v_cmp_gt_u32_e32 vcc_lo, 24, v1
	v_cndmask_b32_e64 v7, 0, 1, vcc_lo
	v_lshlrev_b32_e32 v10, 3, v7
	ds_bpermute_b32 v8, v6, v9
	v_add_nc_u32_e32 v7, 4, v1
	s_delay_alu instid0(VALU_DEP_1) | instskip(SKIP_3) | instid1(VALU_DEP_2)
	v_cmp_lt_u32_e32 vcc_lo, v7, v12
	s_waitcnt lgkmcnt(0)
	v_add_f32_e32 v11, v9, v8
	v_add_lshl_u32 v8, v10, v1, 2
	v_cndmask_b32_e32 v11, v9, v11, vcc_lo
	v_cmp_gt_u32_e32 vcc_lo, 16, v1
	ds_bpermute_b32 v10, v8, v11
	v_cndmask_b32_e64 v9, 0, 1, vcc_lo
	s_delay_alu instid0(VALU_DEP_1) | instskip(SKIP_1) | instid1(VALU_DEP_1)
	v_lshlrev_b32_e32 v13, 4, v9
	v_add_nc_u32_e32 v9, 8, v1
	v_cmp_lt_u32_e32 vcc_lo, v9, v12
	s_waitcnt lgkmcnt(0)
	v_add_f32_e32 v14, v11, v10
	v_add_lshl_u32 v10, v13, v1, 2
	s_delay_alu instid0(VALU_DEP_2)
	v_cndmask_b32_e32 v13, v11, v14, vcc_lo
	v_add_nc_u32_e32 v11, 16, v1
	ds_bpermute_b32 v14, v10, v13
	v_cmp_lt_u32_e32 vcc_lo, v11, v12
	s_waitcnt lgkmcnt(0)
	v_add_f32_e32 v14, v13, v14
	s_delay_alu instid0(VALU_DEP_1)
	v_cndmask_b32_e32 v12, v13, v14, vcc_lo
	v_cmpx_eq_u32_e32 0, v1
	s_cbranch_execz .LBB26_22
; %bb.21:
	v_lshrrev_b32_e32 v13, 3, v0
	s_delay_alu instid0(VALU_DEP_1)
	v_and_b32_e32 v13, 0x7c, v13
	ds_store_b32 v13, v12
.LBB26_22:
	s_or_b32 exec_lo, exec_lo, s2
	s_delay_alu instid0(SALU_CYCLE_1)
	s_mov_b32 s2, exec_lo
	s_waitcnt lgkmcnt(0)
	s_barrier
	buffer_gl0_inv
	v_cmpx_gt_u32_e32 32, v0
	s_cbranch_execz .LBB26_24
; %bb.23:
	v_lshlrev_b32_e32 v1, 2, v1
	s_add_i32 s3, s12, 31
	s_delay_alu instid0(SALU_CYCLE_1) | instskip(NEXT) | instid1(SALU_CYCLE_1)
	s_lshr_b32 s3, s3, 5
	v_cmp_gt_u32_e32 vcc_lo, s3, v3
	ds_load_b32 v1, v1
	s_waitcnt lgkmcnt(0)
	ds_bpermute_b32 v2, v2, v1
	s_waitcnt lgkmcnt(0)
	v_add_f32_e32 v2, v1, v2
	s_delay_alu instid0(VALU_DEP_1) | instskip(SKIP_4) | instid1(VALU_DEP_1)
	v_cndmask_b32_e32 v1, v1, v2, vcc_lo
	v_cmp_gt_u32_e32 vcc_lo, s3, v4
	ds_bpermute_b32 v2, v5, v1
	s_waitcnt lgkmcnt(0)
	v_add_f32_e32 v2, v1, v2
	v_cndmask_b32_e32 v1, v1, v2, vcc_lo
	v_cmp_gt_u32_e32 vcc_lo, s3, v7
	ds_bpermute_b32 v2, v6, v1
	s_waitcnt lgkmcnt(0)
	v_add_f32_e32 v2, v1, v2
	s_delay_alu instid0(VALU_DEP_1) | instskip(SKIP_4) | instid1(VALU_DEP_1)
	v_cndmask_b32_e32 v1, v1, v2, vcc_lo
	v_cmp_gt_u32_e32 vcc_lo, s3, v9
	ds_bpermute_b32 v2, v8, v1
	s_waitcnt lgkmcnt(0)
	v_add_f32_e32 v2, v1, v2
	v_cndmask_b32_e32 v1, v1, v2, vcc_lo
	v_cmp_gt_u32_e32 vcc_lo, s3, v11
	ds_bpermute_b32 v2, v10, v1
	s_waitcnt lgkmcnt(0)
	v_add_f32_e32 v2, v1, v2
	s_delay_alu instid0(VALU_DEP_1)
	v_cndmask_b32_e32 v12, v1, v2, vcc_lo
.LBB26_24:
	s_or_b32 exec_lo, exec_lo, s2
	s_delay_alu instid0(SALU_CYCLE_1)
	s_mov_b32 s2, exec_lo
	v_cmpx_eq_u32_e32 0, v0
	s_cbranch_execz .LBB26_26
; %bb.25:
	v_cvt_f32_i32_e32 v1, s13
	s_load_b32 s3, s[0:1], 0x28
	s_delay_alu instid0(VALU_DEP_1) | instskip(SKIP_1) | instid1(VALU_DEP_2)
	v_div_scale_f32 v2, null, v1, v1, v12
	v_div_scale_f32 v5, vcc_lo, v12, v1, v12
	v_rcp_f32_e32 v3, v2
	s_waitcnt_depctr 0xfff
	v_fma_f32 v4, -v2, v3, 1.0
	s_delay_alu instid0(VALU_DEP_1) | instskip(NEXT) | instid1(VALU_DEP_1)
	v_fmac_f32_e32 v3, v4, v3
	v_mul_f32_e32 v4, v5, v3
	s_delay_alu instid0(VALU_DEP_1) | instskip(NEXT) | instid1(VALU_DEP_1)
	v_fma_f32 v6, -v2, v4, v5
	v_fmac_f32_e32 v4, v6, v3
	s_delay_alu instid0(VALU_DEP_1) | instskip(NEXT) | instid1(VALU_DEP_1)
	v_fma_f32 v2, -v2, v4, v5
	v_div_fmas_f32 v2, v2, v3, v4
	s_delay_alu instid0(VALU_DEP_1) | instskip(SKIP_1) | instid1(VALU_DEP_1)
	v_div_fixup_f32 v1, v2, v1, v12
	s_waitcnt lgkmcnt(0)
	v_add_f32_e32 v1, s3, v1
	s_delay_alu instid0(VALU_DEP_1) | instskip(SKIP_1) | instid1(VALU_DEP_2)
	v_mul_f32_e32 v2, 0x4b800000, v1
	v_cmp_gt_f32_e32 vcc_lo, 0x800000, v1
	v_cndmask_b32_e32 v1, v1, v2, vcc_lo
	s_delay_alu instid0(VALU_DEP_1) | instskip(SKIP_2) | instid1(VALU_DEP_1)
	v_rsq_f32_e32 v1, v1
	s_waitcnt_depctr 0xfff
	v_mul_f32_e32 v2, 0x45800000, v1
	v_dual_cndmask_b32 v1, v1, v2 :: v_dual_mov_b32 v2, 0
	ds_store_b32 v2, v1 offset:128
.LBB26_26:
	s_or_b32 exec_lo, exec_lo, s2
	s_ashr_i32 s2, s13, 31
	s_waitcnt lgkmcnt(0)
	s_lshr_b32 s2, s2, 29
	s_barrier
	s_add_i32 s2, s13, s2
	buffer_gl0_inv
	s_ashr_i32 s8, s2, 3
	s_mov_b32 s2, exec_lo
	v_cmpx_gt_i32_e64 s8, v0
	s_cbranch_execz .LBB26_109
; %bb.27:
	s_clause 0x1
	s_load_b128 s[4:7], s[0:1], 0x18
	s_load_b64 s[2:3], s[0:1], 0x0
	s_mul_i32 s15, s15, s13
	s_lshl_b32 s9, s12, 4
	v_lshl_add_u32 v14, v0, 3, s15
	s_mov_b32 s13, 0x43600000
	v_mov_b32_e32 v10, 0
	v_lshlrev_b32_e32 v16, 4, v0
	ds_load_b32 v13, v10 offset:128
	s_waitcnt lgkmcnt(0)
	s_load_b32 s7, s[6:7], 0x0
	s_lshl_b32 s6, s12, 3
	s_waitcnt lgkmcnt(0)
	v_div_scale_f32 v1, null, s7, s7, 1.0
	v_div_scale_f32 v4, vcc_lo, 1.0, s7, 1.0
	s_delay_alu instid0(VALU_DEP_2) | instskip(SKIP_2) | instid1(VALU_DEP_1)
	v_rcp_f32_e32 v2, v1
	s_waitcnt_depctr 0xfff
	v_fma_f32 v3, -v1, v2, 1.0
	v_fmac_f32_e32 v2, v3, v2
	s_delay_alu instid0(VALU_DEP_1) | instskip(NEXT) | instid1(VALU_DEP_1)
	v_mul_f32_e32 v3, v4, v2
	v_fma_f32 v5, -v1, v3, v4
	s_delay_alu instid0(VALU_DEP_1) | instskip(NEXT) | instid1(VALU_DEP_1)
	v_fmac_f32_e32 v3, v5, v2
	v_fma_f32 v1, -v1, v3, v4
	s_delay_alu instid0(VALU_DEP_1) | instskip(NEXT) | instid1(VALU_DEP_1)
	v_div_fmas_f32 v1, v1, v2, v3
	v_div_fixup_f32 v15, v1, s7, 1.0
	s_mov_b32 s7, 0
	s_branch .LBB26_32
.LBB26_28:                              ;   in Loop: Header=BB26_32 Depth=1
	s_or_b32 exec_lo, exec_lo, s0
	s_delay_alu instid0(VALU_DEP_2) | instskip(NEXT) | instid1(VALU_DEP_2)
	v_lshrrev_b64 v[1:2], 20, v[1:2]
	v_cmp_gt_i32_e32 vcc_lo, 16, v4
	v_and_b32_e32 v3, 0x80, v3
	v_min_i32_e32 v5, 15, v4
	v_cmp_eq_u32_e64 s0, 0, v4
	v_dual_cndmask_b32 v2, 0, v2 :: v_dual_cndmask_b32 v1, 7, v1
	s_delay_alu instid0(VALU_DEP_3) | instskip(NEXT) | instid1(VALU_DEP_2)
	v_lshl_or_b32 v3, v5, 3, v3
	v_cmp_eq_u64_e32 vcc_lo, 0, v[1:2]
	s_delay_alu instid0(VALU_DEP_2)
	v_and_or_b32 v1, v1, 7, v3
	s_and_b32 s0, s0, vcc_lo
	s_delay_alu instid0(VALU_DEP_1) | instid1(SALU_CYCLE_1)
	v_cndmask_b32_e64 v1, v1, 0, s0
.LBB26_29:                              ;   in Loop: Header=BB26_32 Depth=1
	s_or_b32 exec_lo, exec_lo, s16
.LBB26_30:                              ;   in Loop: Header=BB26_32 Depth=1
	s_and_not1_saveexec_b32 s0, s15
	s_delay_alu instid0(SALU_CYCLE_1)
	s_or_b32 exec_lo, exec_lo, s0
.LBB26_31:                              ;   in Loop: Header=BB26_32 Depth=1
	s_and_not1_saveexec_b32 s0, s14
	s_delay_alu instid0(SALU_CYCLE_1)
	s_or_b32 exec_lo, exec_lo, s0
	v_add_nc_u32_e32 v0, s12, v0
	s_add_u32 s4, s4, s9
	v_add_nc_u32_e32 v2, 7, v14
	v_add_nc_u32_e32 v14, s6, v14
	s_addc_u32 s5, s5, 0
	v_cmp_le_i32_e32 vcc_lo, s8, v0
	s_add_u32 s10, s10, s9
	s_addc_u32 s11, s11, 0
	global_store_b8 v2, v1, s[2:3]
	s_or_b32 s7, vcc_lo, s7
	s_delay_alu instid0(SALU_CYCLE_1)
	s_and_not1_b32 exec_lo, exec_lo, s7
	s_cbranch_execz .LBB26_109
.LBB26_32:                              ; =>This Inner Loop Header: Depth=1
	v_add_co_u32 v1, s0, s10, v16
	s_delay_alu instid0(VALU_DEP_1) | instskip(SKIP_2) | instid1(VALU_DEP_1)
	v_add_co_ci_u32_e64 v2, null, s11, 0, s0
	global_load_b128 v[5:8], v[1:2], off
	v_add_co_u32 v1, s0, s4, v16
	v_add_co_ci_u32_e64 v2, null, s5, 0, s0
	s_mov_b32 s0, exec_lo
	global_load_b128 v[1:4], v[1:2], off
	s_waitcnt vmcnt(1)
	v_lshlrev_b32_e32 v9, 16, v5
	s_delay_alu instid0(VALU_DEP_1) | instskip(NEXT) | instid1(VALU_DEP_1)
	v_mul_f32_e32 v9, v13, v9
	v_bfe_u32 v11, v9, 16, 1
	v_cmp_o_f32_e32 vcc_lo, v9, v9
	s_delay_alu instid0(VALU_DEP_2) | instskip(NEXT) | instid1(VALU_DEP_1)
	v_add3_u32 v11, v9, v11, 0x7fff
	v_and_b32_e32 v11, 0xffff0000, v11
	s_delay_alu instid0(VALU_DEP_1) | instskip(SKIP_2) | instid1(VALU_DEP_1)
	v_cndmask_b32_e32 v9, 0x7fc00000, v11, vcc_lo
	s_waitcnt vmcnt(0)
	v_lshlrev_b32_e32 v11, 16, v1
	v_mul_f32_e32 v9, v9, v11
	s_delay_alu instid0(VALU_DEP_1) | instskip(SKIP_1) | instid1(VALU_DEP_2)
	v_bfe_u32 v11, v9, 16, 1
	v_cmp_o_f32_e32 vcc_lo, v9, v9
	v_add3_u32 v11, v9, v11, 0x7fff
	s_delay_alu instid0(VALU_DEP_1) | instskip(NEXT) | instid1(VALU_DEP_1)
	v_and_b32_e32 v11, 0xffff0000, v11
	v_cndmask_b32_e32 v9, 0x7fc00000, v11, vcc_lo
	s_delay_alu instid0(VALU_DEP_1) | instskip(NEXT) | instid1(VALU_DEP_1)
	v_mul_f32_e32 v9, v15, v9
	v_minmax_f32 v12, v9, s13, 0xc3600000
	s_delay_alu instid0(VALU_DEP_1) | instskip(SKIP_1) | instid1(VALU_DEP_2)
	v_lshrrev_b32_e32 v17, 24, v12
	v_and_b32_e32 v9, 0x7f800000, v12
	v_or_b32_e32 v11, 0x7f, v17
	s_delay_alu instid0(VALU_DEP_2)
	v_cmpx_ne_u64_e32 0x7f800000, v[9:10]
	s_xor_b32 s14, exec_lo, s0
	s_cbranch_execz .LBB26_42
; %bb.33:                               ;   in Loop: Header=BB26_32 Depth=1
	v_and_b32_e32 v9, 0x7fffffff, v12
	s_mov_b32 s0, exec_lo
	s_delay_alu instid0(VALU_DEP_1)
	v_cmpx_gt_u64_e32 0x43700001, v[9:10]
	s_xor_b32 s15, exec_lo, s0
	s_cbranch_execz .LBB26_41
; %bb.34:                               ;   in Loop: Header=BB26_32 Depth=1
	v_mov_b32_e32 v11, 0
	s_mov_b32 s16, exec_lo
	v_cmpx_ne_u32_e32 0, v12
	s_cbranch_execz .LBB26_40
; %bb.35:                               ;   in Loop: Header=BB26_32 Depth=1
	v_bfe_u32 v22, v12, 23, 8
	v_and_b32_e32 v11, 0x7fffff, v12
	s_delay_alu instid0(VALU_DEP_2) | instskip(SKIP_2) | instid1(VALU_DEP_3)
	v_sub_nc_u32_e64 v9, 0x78, v22 clamp
	v_cmp_eq_u32_e32 vcc_lo, 0, v22
	v_add_nc_u32_e32 v22, 0xffffff89, v22
	v_cndmask_b32_e64 v23, v9, 0x77, vcc_lo
	v_or_b32_e32 v9, 0x800000, v11
	s_delay_alu instid0(VALU_DEP_2) | instskip(NEXT) | instid1(VALU_DEP_2)
	v_add_nc_u32_e32 v12, 20, v23
	v_cndmask_b32_e32 v9, v9, v11, vcc_lo
	v_add_nc_u32_e32 v18, 19, v23
	s_delay_alu instid0(VALU_DEP_3) | instskip(NEXT) | instid1(VALU_DEP_3)
	v_lshlrev_b64 v[11:12], v12, -1
	v_lshrrev_b64 v[20:21], v23, v[9:10]
	s_delay_alu instid0(VALU_DEP_3) | instskip(SKIP_1) | instid1(VALU_DEP_4)
	v_lshlrev_b64 v[18:19], v18, 1
	v_mov_b32_e32 v12, v10
	v_not_b32_e32 v11, v11
	s_delay_alu instid0(VALU_DEP_1) | instskip(SKIP_1) | instid1(VALU_DEP_2)
	v_and_b32_e32 v11, v9, v11
	v_and_b32_e32 v9, 0x100000, v20
	v_cmp_eq_u64_e64 s0, v[11:12], v[18:19]
	s_delay_alu instid0(VALU_DEP_2) | instskip(SKIP_2) | instid1(VALU_DEP_3)
	v_cmp_eq_u64_e64 s1, 0, v[9:10]
	v_cndmask_b32_e64 v9, v22, 0xffffff8a, vcc_lo
	v_lshrrev_b32_e32 v11, 23, v20
	s_and_b32 vcc_lo, s1, s0
	s_delay_alu instid0(VALU_DEP_1) | instskip(SKIP_2) | instid1(VALU_DEP_2)
	v_add3_u32 v18, v9, v23, v11
	v_subrev_co_ci_u32_e32 v12, vcc_lo, 0, v20, vcc_lo
	s_mov_b32 s0, exec_lo
	v_add_nc_u32_e32 v19, -1, v18
	s_delay_alu instid0(VALU_DEP_2) | instskip(NEXT) | instid1(VALU_DEP_1)
	v_and_b32_e32 v9, 0xfffff, v12
	v_add_co_u32 v11, vcc_lo, v9, v20
	v_add_co_ci_u32_e32 v12, vcc_lo, 0, v21, vcc_lo
                                        ; implicit-def: $vgpr9
	s_delay_alu instid0(VALU_DEP_4)
	v_cmpx_ne_u32_e32 0, v19
	s_xor_b32 s0, exec_lo, s0
; %bb.36:                               ;   in Loop: Header=BB26_32 Depth=1
	s_delay_alu instid0(VALU_DEP_3) | instskip(SKIP_1) | instid1(VALU_DEP_2)
	v_and_b32_e32 v9, 0x1000000, v11
	v_bfe_u32 v20, v11, 24, 1
	v_cmp_eq_u64_e32 vcc_lo, 0, v[9:10]
	s_delay_alu instid0(VALU_DEP_2)
	v_lshrrev_b64 v[11:12], v20, v[11:12]
	v_cndmask_b32_e32 v9, v18, v19, vcc_lo
; %bb.37:                               ;   in Loop: Header=BB26_32 Depth=1
	s_and_not1_saveexec_b32 s0, s0
; %bb.38:                               ;   in Loop: Header=BB26_32 Depth=1
	s_delay_alu instid0(VALU_DEP_2)
	v_bfe_u32 v9, v11, 23, 1
; %bb.39:                               ;   in Loop: Header=BB26_32 Depth=1
	s_or_b32 exec_lo, exec_lo, s0
	s_delay_alu instid0(VALU_DEP_3) | instskip(NEXT) | instid1(VALU_DEP_2)
	v_lshrrev_b64 v[11:12], 20, v[11:12]
	v_cmp_gt_i32_e32 vcc_lo, 16, v9
	v_and_b32_e32 v17, 0x80, v17
	v_min_i32_e32 v18, 15, v9
	v_cmp_eq_u32_e64 s0, 0, v9
	v_dual_cndmask_b32 v12, 0, v12 :: v_dual_cndmask_b32 v11, 7, v11
	s_delay_alu instid0(VALU_DEP_3) | instskip(NEXT) | instid1(VALU_DEP_2)
	v_lshl_or_b32 v17, v18, 3, v17
	v_cmp_eq_u64_e32 vcc_lo, 0, v[11:12]
	s_delay_alu instid0(VALU_DEP_2)
	v_and_or_b32 v9, v11, 7, v17
	s_and_b32 s0, s0, vcc_lo
	s_delay_alu instid0(VALU_DEP_1) | instid1(SALU_CYCLE_1)
	v_cndmask_b32_e64 v11, v9, 0, s0
.LBB26_40:                              ;   in Loop: Header=BB26_32 Depth=1
	s_or_b32 exec_lo, exec_lo, s16
.LBB26_41:                              ;   in Loop: Header=BB26_32 Depth=1
	s_and_not1_saveexec_b32 s0, s15
	s_delay_alu instid0(SALU_CYCLE_1)
	s_or_b32 exec_lo, exec_lo, s0
.LBB26_42:                              ;   in Loop: Header=BB26_32 Depth=1
	s_and_not1_saveexec_b32 s0, s14
	s_delay_alu instid0(SALU_CYCLE_1)
	s_or_b32 exec_lo, exec_lo, s0
	v_and_b32_e32 v5, 0xffff0000, v5
	v_and_b32_e32 v1, 0xffff0000, v1
	global_store_b8 v14, v11, s[2:3]
	s_mov_b32 s0, exec_lo
	v_mul_f32_e32 v5, v13, v5
	s_delay_alu instid0(VALU_DEP_1) | instskip(SKIP_1) | instid1(VALU_DEP_2)
	v_bfe_u32 v9, v5, 16, 1
	v_cmp_o_f32_e32 vcc_lo, v5, v5
	v_add3_u32 v9, v5, v9, 0x7fff
	s_delay_alu instid0(VALU_DEP_1) | instskip(NEXT) | instid1(VALU_DEP_1)
	v_and_b32_e32 v9, 0xffff0000, v9
	v_cndmask_b32_e32 v5, 0x7fc00000, v9, vcc_lo
	s_delay_alu instid0(VALU_DEP_1) | instskip(NEXT) | instid1(VALU_DEP_1)
	v_mul_f32_e32 v1, v5, v1
	v_bfe_u32 v5, v1, 16, 1
	v_cmp_o_f32_e32 vcc_lo, v1, v1
	s_delay_alu instid0(VALU_DEP_2) | instskip(NEXT) | instid1(VALU_DEP_1)
	v_add3_u32 v5, v1, v5, 0x7fff
	v_and_b32_e32 v5, 0xffff0000, v5
	s_delay_alu instid0(VALU_DEP_1) | instskip(NEXT) | instid1(VALU_DEP_1)
	v_cndmask_b32_e32 v1, 0x7fc00000, v5, vcc_lo
	v_mul_f32_e32 v1, v15, v1
	s_delay_alu instid0(VALU_DEP_1) | instskip(NEXT) | instid1(VALU_DEP_1)
	v_minmax_f32 v12, v1, s13, 0xc3600000
	v_lshrrev_b32_e32 v1, 24, v12
	v_and_b32_e32 v9, 0x7f800000, v12
	s_delay_alu instid0(VALU_DEP_2) | instskip(NEXT) | instid1(VALU_DEP_2)
	v_or_b32_e32 v5, 0x7f, v1
	v_cmpx_ne_u64_e32 0x7f800000, v[9:10]
	s_xor_b32 s14, exec_lo, s0
	s_cbranch_execz .LBB26_52
; %bb.43:                               ;   in Loop: Header=BB26_32 Depth=1
	v_and_b32_e32 v9, 0x7fffffff, v12
	s_mov_b32 s0, exec_lo
	s_delay_alu instid0(VALU_DEP_1)
	v_cmpx_gt_u64_e32 0x43700001, v[9:10]
	s_xor_b32 s15, exec_lo, s0
	s_cbranch_execz .LBB26_51
; %bb.44:                               ;   in Loop: Header=BB26_32 Depth=1
	v_mov_b32_e32 v5, 0
	s_mov_b32 s16, exec_lo
	v_cmpx_ne_u32_e32 0, v12
	s_cbranch_execz .LBB26_50
; %bb.45:                               ;   in Loop: Header=BB26_32 Depth=1
	v_bfe_u32 v5, v12, 23, 8
	v_and_b32_e32 v11, 0x7fffff, v12
	s_delay_alu instid0(VALU_DEP_2) | instskip(SKIP_2) | instid1(VALU_DEP_3)
	v_sub_nc_u32_e64 v9, 0x78, v5 clamp
	v_cmp_eq_u32_e32 vcc_lo, 0, v5
	v_add_nc_u32_e32 v5, 0xffffff89, v5
	v_cndmask_b32_e64 v21, v9, 0x77, vcc_lo
	v_or_b32_e32 v9, 0x800000, v11
	s_delay_alu instid0(VALU_DEP_3) | instskip(NEXT) | instid1(VALU_DEP_2)
	v_cndmask_b32_e64 v5, v5, 0xffffff8a, vcc_lo
	v_dual_cndmask_b32 v9, v9, v11 :: v_dual_add_nc_u32 v12, 20, v21
	v_add_nc_u32_e32 v17, 19, v21
	s_delay_alu instid0(VALU_DEP_2) | instskip(NEXT) | instid1(VALU_DEP_3)
	v_lshlrev_b64 v[11:12], v12, -1
	v_lshrrev_b64 v[19:20], v21, v[9:10]
	s_delay_alu instid0(VALU_DEP_3) | instskip(SKIP_1) | instid1(VALU_DEP_4)
	v_lshlrev_b64 v[17:18], v17, 1
	v_mov_b32_e32 v12, v10
	v_not_b32_e32 v11, v11
	s_delay_alu instid0(VALU_DEP_1) | instskip(SKIP_1) | instid1(VALU_DEP_2)
	v_and_b32_e32 v11, v9, v11
	v_and_b32_e32 v9, 0x100000, v19
	v_cmp_eq_u64_e64 s0, v[11:12], v[17:18]
	s_delay_alu instid0(VALU_DEP_2) | instskip(SKIP_1) | instid1(VALU_DEP_1)
	v_cmp_eq_u64_e64 s1, 0, v[9:10]
	v_lshrrev_b32_e32 v9, 23, v19
	v_add3_u32 v17, v5, v21, v9
	s_delay_alu instid0(VALU_DEP_3) | instskip(SKIP_2) | instid1(VALU_DEP_2)
	s_and_b32 vcc_lo, s1, s0
	s_mov_b32 s0, exec_lo
	v_subrev_co_ci_u32_e32 v11, vcc_lo, 0, v19, vcc_lo
	v_add_nc_u32_e32 v18, -1, v17
	s_delay_alu instid0(VALU_DEP_2) | instskip(NEXT) | instid1(VALU_DEP_1)
	v_and_b32_e32 v5, 0xfffff, v11
	v_add_co_u32 v11, vcc_lo, v5, v19
	v_add_co_ci_u32_e32 v12, vcc_lo, 0, v20, vcc_lo
                                        ; implicit-def: $vgpr5
	s_delay_alu instid0(VALU_DEP_4)
	v_cmpx_ne_u32_e32 0, v18
	s_xor_b32 s0, exec_lo, s0
; %bb.46:                               ;   in Loop: Header=BB26_32 Depth=1
	s_delay_alu instid0(VALU_DEP_3) | instskip(SKIP_1) | instid1(VALU_DEP_2)
	v_and_b32_e32 v9, 0x1000000, v11
	v_bfe_u32 v5, v11, 24, 1
	v_cmp_eq_u64_e32 vcc_lo, 0, v[9:10]
	s_delay_alu instid0(VALU_DEP_2)
	v_lshrrev_b64 v[11:12], v5, v[11:12]
	v_cndmask_b32_e32 v5, v17, v18, vcc_lo
; %bb.47:                               ;   in Loop: Header=BB26_32 Depth=1
	s_and_not1_saveexec_b32 s0, s0
; %bb.48:                               ;   in Loop: Header=BB26_32 Depth=1
	s_delay_alu instid0(VALU_DEP_2)
	v_bfe_u32 v5, v11, 23, 1
; %bb.49:                               ;   in Loop: Header=BB26_32 Depth=1
	s_or_b32 exec_lo, exec_lo, s0
	s_delay_alu instid0(VALU_DEP_3) | instskip(NEXT) | instid1(VALU_DEP_2)
	v_lshrrev_b64 v[11:12], 20, v[11:12]
	v_cmp_gt_i32_e32 vcc_lo, 16, v5
	v_and_b32_e32 v1, 0x80, v1
	v_min_i32_e32 v9, 15, v5
	v_cmp_eq_u32_e64 s0, 0, v5
	v_dual_cndmask_b32 v12, 0, v12 :: v_dual_cndmask_b32 v11, 7, v11
	s_delay_alu instid0(VALU_DEP_3) | instskip(NEXT) | instid1(VALU_DEP_2)
	v_lshl_or_b32 v1, v9, 3, v1
	v_cmp_eq_u64_e32 vcc_lo, 0, v[11:12]
	s_delay_alu instid0(VALU_DEP_2)
	v_and_or_b32 v1, v11, 7, v1
	s_and_b32 s0, s0, vcc_lo
	s_delay_alu instid0(VALU_DEP_1) | instid1(SALU_CYCLE_1)
	v_cndmask_b32_e64 v5, v1, 0, s0
.LBB26_50:                              ;   in Loop: Header=BB26_32 Depth=1
	s_or_b32 exec_lo, exec_lo, s16
.LBB26_51:                              ;   in Loop: Header=BB26_32 Depth=1
	s_and_not1_saveexec_b32 s0, s15
	s_delay_alu instid0(SALU_CYCLE_1)
	s_or_b32 exec_lo, exec_lo, s0
.LBB26_52:                              ;   in Loop: Header=BB26_32 Depth=1
	s_and_not1_saveexec_b32 s0, s14
	s_delay_alu instid0(SALU_CYCLE_1) | instskip(SKIP_3) | instid1(VALU_DEP_2)
	s_or_b32 exec_lo, exec_lo, s0
	v_lshlrev_b32_e32 v1, 16, v6
	v_add_nc_u32_e32 v17, 1, v14
	s_mov_b32 s0, exec_lo
	v_mul_f32_e32 v1, v13, v1
	global_store_b8 v17, v5, s[2:3]
	v_bfe_u32 v9, v1, 16, 1
	v_cmp_o_f32_e32 vcc_lo, v1, v1
	s_delay_alu instid0(VALU_DEP_2) | instskip(NEXT) | instid1(VALU_DEP_1)
	v_add3_u32 v9, v1, v9, 0x7fff
	v_and_b32_e32 v9, 0xffff0000, v9
	s_delay_alu instid0(VALU_DEP_1) | instskip(SKIP_1) | instid1(VALU_DEP_1)
	v_cndmask_b32_e32 v1, 0x7fc00000, v9, vcc_lo
	v_lshlrev_b32_e32 v9, 16, v2
	v_mul_f32_e32 v1, v1, v9
	s_delay_alu instid0(VALU_DEP_1) | instskip(SKIP_1) | instid1(VALU_DEP_2)
	v_bfe_u32 v9, v1, 16, 1
	v_cmp_o_f32_e32 vcc_lo, v1, v1
	v_add3_u32 v9, v1, v9, 0x7fff
	s_delay_alu instid0(VALU_DEP_1) | instskip(NEXT) | instid1(VALU_DEP_1)
	v_and_b32_e32 v9, 0xffff0000, v9
	v_cndmask_b32_e32 v1, 0x7fc00000, v9, vcc_lo
	s_delay_alu instid0(VALU_DEP_1) | instskip(NEXT) | instid1(VALU_DEP_1)
	v_mul_f32_e32 v1, v15, v1
	v_minmax_f32 v12, v1, s13, 0xc3600000
	s_delay_alu instid0(VALU_DEP_1) | instskip(SKIP_1) | instid1(VALU_DEP_2)
	v_lshrrev_b32_e32 v1, 24, v12
	v_and_b32_e32 v9, 0x7f800000, v12
	v_or_b32_e32 v11, 0x7f, v1
	s_delay_alu instid0(VALU_DEP_2)
	v_cmpx_ne_u64_e32 0x7f800000, v[9:10]
	s_xor_b32 s14, exec_lo, s0
	s_cbranch_execz .LBB26_62
; %bb.53:                               ;   in Loop: Header=BB26_32 Depth=1
	v_and_b32_e32 v9, 0x7fffffff, v12
	s_mov_b32 s0, exec_lo
	s_delay_alu instid0(VALU_DEP_1)
	v_cmpx_gt_u64_e32 0x43700001, v[9:10]
	s_xor_b32 s15, exec_lo, s0
	s_cbranch_execz .LBB26_61
; %bb.54:                               ;   in Loop: Header=BB26_32 Depth=1
	v_mov_b32_e32 v11, 0
	s_mov_b32 s16, exec_lo
	v_cmpx_ne_u32_e32 0, v12
	s_cbranch_execz .LBB26_60
; %bb.55:                               ;   in Loop: Header=BB26_32 Depth=1
	v_bfe_u32 v5, v12, 23, 8
	v_and_b32_e32 v11, 0x7fffff, v12
	s_delay_alu instid0(VALU_DEP_2) | instskip(SKIP_2) | instid1(VALU_DEP_3)
	v_sub_nc_u32_e64 v9, 0x78, v5 clamp
	v_cmp_eq_u32_e32 vcc_lo, 0, v5
	v_add_nc_u32_e32 v5, 0xffffff89, v5
	v_cndmask_b32_e64 v21, v9, 0x77, vcc_lo
	v_or_b32_e32 v9, 0x800000, v11
	s_delay_alu instid0(VALU_DEP_3) | instskip(NEXT) | instid1(VALU_DEP_2)
	v_cndmask_b32_e64 v5, v5, 0xffffff8a, vcc_lo
	v_dual_cndmask_b32 v9, v9, v11 :: v_dual_add_nc_u32 v12, 20, v21
	v_add_nc_u32_e32 v17, 19, v21
	s_delay_alu instid0(VALU_DEP_2) | instskip(NEXT) | instid1(VALU_DEP_3)
	v_lshlrev_b64 v[11:12], v12, -1
	v_lshrrev_b64 v[19:20], v21, v[9:10]
	s_delay_alu instid0(VALU_DEP_3) | instskip(SKIP_1) | instid1(VALU_DEP_4)
	v_lshlrev_b64 v[17:18], v17, 1
	v_mov_b32_e32 v12, v10
	v_not_b32_e32 v11, v11
	s_delay_alu instid0(VALU_DEP_1) | instskip(SKIP_1) | instid1(VALU_DEP_2)
	v_and_b32_e32 v11, v9, v11
	v_and_b32_e32 v9, 0x100000, v19
	v_cmp_eq_u64_e64 s0, v[11:12], v[17:18]
	s_delay_alu instid0(VALU_DEP_2) | instskip(SKIP_1) | instid1(VALU_DEP_1)
	v_cmp_eq_u64_e64 s1, 0, v[9:10]
	v_lshrrev_b32_e32 v9, 23, v19
	v_add3_u32 v17, v5, v21, v9
	s_delay_alu instid0(VALU_DEP_3) | instskip(SKIP_2) | instid1(VALU_DEP_2)
	s_and_b32 vcc_lo, s1, s0
	s_mov_b32 s0, exec_lo
	v_subrev_co_ci_u32_e32 v11, vcc_lo, 0, v19, vcc_lo
	v_add_nc_u32_e32 v18, -1, v17
	s_delay_alu instid0(VALU_DEP_2) | instskip(NEXT) | instid1(VALU_DEP_1)
	v_and_b32_e32 v5, 0xfffff, v11
	v_add_co_u32 v11, vcc_lo, v5, v19
	v_add_co_ci_u32_e32 v12, vcc_lo, 0, v20, vcc_lo
                                        ; implicit-def: $vgpr5
	s_delay_alu instid0(VALU_DEP_4)
	v_cmpx_ne_u32_e32 0, v18
	s_xor_b32 s0, exec_lo, s0
; %bb.56:                               ;   in Loop: Header=BB26_32 Depth=1
	s_delay_alu instid0(VALU_DEP_3) | instskip(SKIP_1) | instid1(VALU_DEP_2)
	v_and_b32_e32 v9, 0x1000000, v11
	v_bfe_u32 v5, v11, 24, 1
	v_cmp_eq_u64_e32 vcc_lo, 0, v[9:10]
	s_delay_alu instid0(VALU_DEP_2)
	v_lshrrev_b64 v[11:12], v5, v[11:12]
	v_cndmask_b32_e32 v5, v17, v18, vcc_lo
; %bb.57:                               ;   in Loop: Header=BB26_32 Depth=1
	s_and_not1_saveexec_b32 s0, s0
; %bb.58:                               ;   in Loop: Header=BB26_32 Depth=1
	s_delay_alu instid0(VALU_DEP_2)
	v_bfe_u32 v5, v11, 23, 1
; %bb.59:                               ;   in Loop: Header=BB26_32 Depth=1
	s_or_b32 exec_lo, exec_lo, s0
	s_delay_alu instid0(VALU_DEP_3) | instskip(NEXT) | instid1(VALU_DEP_2)
	v_lshrrev_b64 v[11:12], 20, v[11:12]
	v_cmp_gt_i32_e32 vcc_lo, 16, v5
	v_and_b32_e32 v1, 0x80, v1
	v_min_i32_e32 v9, 15, v5
	v_cmp_eq_u32_e64 s0, 0, v5
	v_dual_cndmask_b32 v12, 0, v12 :: v_dual_cndmask_b32 v11, 7, v11
	s_delay_alu instid0(VALU_DEP_3) | instskip(NEXT) | instid1(VALU_DEP_2)
	v_lshl_or_b32 v1, v9, 3, v1
	v_cmp_eq_u64_e32 vcc_lo, 0, v[11:12]
	s_delay_alu instid0(VALU_DEP_2)
	v_and_or_b32 v1, v11, 7, v1
	s_and_b32 s0, s0, vcc_lo
	s_delay_alu instid0(VALU_DEP_1) | instid1(SALU_CYCLE_1)
	v_cndmask_b32_e64 v11, v1, 0, s0
.LBB26_60:                              ;   in Loop: Header=BB26_32 Depth=1
	s_or_b32 exec_lo, exec_lo, s16
.LBB26_61:                              ;   in Loop: Header=BB26_32 Depth=1
	s_and_not1_saveexec_b32 s0, s15
	s_delay_alu instid0(SALU_CYCLE_1)
	s_or_b32 exec_lo, exec_lo, s0
.LBB26_62:                              ;   in Loop: Header=BB26_32 Depth=1
	s_and_not1_saveexec_b32 s0, s14
	s_delay_alu instid0(SALU_CYCLE_1) | instskip(SKIP_3) | instid1(VALU_DEP_2)
	s_or_b32 exec_lo, exec_lo, s0
	v_and_b32_e32 v1, 0xffff0000, v6
	s_mov_b32 s0, exec_lo
	v_and_b32_e32 v2, 0xffff0000, v2
	v_dual_mul_f32 v1, v13, v1 :: v_dual_add_nc_u32 v6, 2, v14
	global_store_b8 v6, v11, s[2:3]
	v_bfe_u32 v5, v1, 16, 1
	v_cmp_o_f32_e32 vcc_lo, v1, v1
	s_delay_alu instid0(VALU_DEP_2) | instskip(NEXT) | instid1(VALU_DEP_1)
	v_add3_u32 v5, v1, v5, 0x7fff
	v_and_b32_e32 v5, 0xffff0000, v5
	s_delay_alu instid0(VALU_DEP_1) | instskip(NEXT) | instid1(VALU_DEP_1)
	v_cndmask_b32_e32 v1, 0x7fc00000, v5, vcc_lo
	v_mul_f32_e32 v1, v1, v2
	s_delay_alu instid0(VALU_DEP_1) | instskip(SKIP_1) | instid1(VALU_DEP_2)
	v_bfe_u32 v2, v1, 16, 1
	v_cmp_o_f32_e32 vcc_lo, v1, v1
	v_add3_u32 v2, v1, v2, 0x7fff
	s_delay_alu instid0(VALU_DEP_1) | instskip(NEXT) | instid1(VALU_DEP_1)
	v_and_b32_e32 v2, 0xffff0000, v2
	v_cndmask_b32_e32 v1, 0x7fc00000, v2, vcc_lo
	s_delay_alu instid0(VALU_DEP_1) | instskip(NEXT) | instid1(VALU_DEP_1)
	v_mul_f32_e32 v1, v15, v1
	v_minmax_f32 v2, v1, s13, 0xc3600000
	s_delay_alu instid0(VALU_DEP_1) | instskip(SKIP_1) | instid1(VALU_DEP_2)
	v_lshrrev_b32_e32 v5, 24, v2
	v_and_b32_e32 v9, 0x7f800000, v2
	v_or_b32_e32 v1, 0x7f, v5
	s_delay_alu instid0(VALU_DEP_2)
	v_cmpx_ne_u64_e32 0x7f800000, v[9:10]
	s_xor_b32 s14, exec_lo, s0
	s_cbranch_execz .LBB26_72
; %bb.63:                               ;   in Loop: Header=BB26_32 Depth=1
	v_and_b32_e32 v9, 0x7fffffff, v2
	s_mov_b32 s0, exec_lo
	s_delay_alu instid0(VALU_DEP_1)
	v_cmpx_gt_u64_e32 0x43700001, v[9:10]
	s_xor_b32 s15, exec_lo, s0
	s_cbranch_execz .LBB26_71
; %bb.64:                               ;   in Loop: Header=BB26_32 Depth=1
	v_mov_b32_e32 v1, 0
	s_mov_b32 s16, exec_lo
	v_cmpx_ne_u32_e32 0, v2
	s_cbranch_execz .LBB26_70
; %bb.65:                               ;   in Loop: Header=BB26_32 Depth=1
	v_bfe_u32 v6, v2, 23, 8
	v_and_b32_e32 v2, 0x7fffff, v2
	s_delay_alu instid0(VALU_DEP_2) | instskip(SKIP_2) | instid1(VALU_DEP_3)
	v_sub_nc_u32_e64 v1, 0x78, v6 clamp
	v_cmp_eq_u32_e32 vcc_lo, 0, v6
	v_add_nc_u32_e32 v6, 0xffffff89, v6
	v_cndmask_b32_e64 v19, v1, 0x77, vcc_lo
	v_or_b32_e32 v1, 0x800000, v2
	s_delay_alu instid0(VALU_DEP_2) | instskip(NEXT) | instid1(VALU_DEP_2)
	v_add_nc_u32_e32 v11, 20, v19
	v_cndmask_b32_e32 v9, v1, v2, vcc_lo
	s_delay_alu instid0(VALU_DEP_2) | instskip(SKIP_1) | instid1(VALU_DEP_3)
	v_lshlrev_b64 v[1:2], v11, -1
	v_add_nc_u32_e32 v11, 19, v19
	v_lshrrev_b64 v[17:18], v19, v[9:10]
	v_mov_b32_e32 v2, v10
	s_delay_alu instid0(VALU_DEP_3) | instskip(SKIP_1) | instid1(VALU_DEP_1)
	v_lshlrev_b64 v[11:12], v11, 1
	v_not_b32_e32 v1, v1
	v_and_b32_e32 v1, v9, v1
	v_and_b32_e32 v9, 0x100000, v17
	s_delay_alu instid0(VALU_DEP_2) | instskip(NEXT) | instid1(VALU_DEP_2)
	v_cmp_eq_u64_e64 s0, v[1:2], v[11:12]
	v_cmp_eq_u64_e64 s1, 0, v[9:10]
	v_cndmask_b32_e64 v1, v6, 0xffffff8a, vcc_lo
	v_lshrrev_b32_e32 v2, 23, v17
	s_delay_alu instid0(VALU_DEP_3) | instskip(NEXT) | instid1(VALU_DEP_1)
	s_and_b32 vcc_lo, s1, s0
	v_add3_u32 v11, v1, v19, v2
	v_subrev_co_ci_u32_e32 v6, vcc_lo, 0, v17, vcc_lo
	s_mov_b32 s0, exec_lo
	s_delay_alu instid0(VALU_DEP_2) | instskip(NEXT) | instid1(VALU_DEP_2)
	v_add_nc_u32_e32 v12, -1, v11
	v_and_b32_e32 v1, 0xfffff, v6
                                        ; implicit-def: $vgpr6
	s_delay_alu instid0(VALU_DEP_1) | instskip(SKIP_1) | instid1(VALU_DEP_4)
	v_add_co_u32 v1, vcc_lo, v1, v17
	v_add_co_ci_u32_e32 v2, vcc_lo, 0, v18, vcc_lo
	v_cmpx_ne_u32_e32 0, v12
	s_xor_b32 s0, exec_lo, s0
; %bb.66:                               ;   in Loop: Header=BB26_32 Depth=1
	s_delay_alu instid0(VALU_DEP_3) | instskip(SKIP_1) | instid1(VALU_DEP_2)
	v_and_b32_e32 v9, 0x1000000, v1
	v_bfe_u32 v6, v1, 24, 1
	v_cmp_eq_u64_e32 vcc_lo, 0, v[9:10]
	s_delay_alu instid0(VALU_DEP_2)
	v_lshrrev_b64 v[1:2], v6, v[1:2]
	v_cndmask_b32_e32 v6, v11, v12, vcc_lo
; %bb.67:                               ;   in Loop: Header=BB26_32 Depth=1
	s_and_not1_saveexec_b32 s0, s0
; %bb.68:                               ;   in Loop: Header=BB26_32 Depth=1
	s_delay_alu instid0(VALU_DEP_2)
	v_bfe_u32 v6, v1, 23, 1
; %bb.69:                               ;   in Loop: Header=BB26_32 Depth=1
	s_or_b32 exec_lo, exec_lo, s0
	s_delay_alu instid0(VALU_DEP_3) | instskip(NEXT) | instid1(VALU_DEP_2)
	v_lshrrev_b64 v[1:2], 20, v[1:2]
	v_cmp_gt_i32_e32 vcc_lo, 16, v6
	v_and_b32_e32 v5, 0x80, v5
	v_min_i32_e32 v9, 15, v6
	v_cmp_eq_u32_e64 s0, 0, v6
	v_dual_cndmask_b32 v2, 0, v2 :: v_dual_cndmask_b32 v1, 7, v1
	s_delay_alu instid0(VALU_DEP_3) | instskip(NEXT) | instid1(VALU_DEP_2)
	v_lshl_or_b32 v5, v9, 3, v5
	v_cmp_eq_u64_e32 vcc_lo, 0, v[1:2]
	s_delay_alu instid0(VALU_DEP_2)
	v_and_or_b32 v1, v1, 7, v5
	s_and_b32 s0, s0, vcc_lo
	s_delay_alu instid0(VALU_DEP_1) | instid1(SALU_CYCLE_1)
	v_cndmask_b32_e64 v1, v1, 0, s0
.LBB26_70:                              ;   in Loop: Header=BB26_32 Depth=1
	s_or_b32 exec_lo, exec_lo, s16
.LBB26_71:                              ;   in Loop: Header=BB26_32 Depth=1
	s_and_not1_saveexec_b32 s0, s15
	s_delay_alu instid0(SALU_CYCLE_1)
	s_or_b32 exec_lo, exec_lo, s0
.LBB26_72:                              ;   in Loop: Header=BB26_32 Depth=1
	s_and_not1_saveexec_b32 s0, s14
	s_delay_alu instid0(SALU_CYCLE_1) | instskip(SKIP_3) | instid1(VALU_DEP_2)
	s_or_b32 exec_lo, exec_lo, s0
	v_lshlrev_b32_e32 v2, 16, v7
	s_mov_b32 s0, exec_lo
	v_add_nc_u32_e32 v11, 3, v14
	v_mul_f32_e32 v2, v13, v2
	global_store_b8 v11, v1, s[2:3]
	v_bfe_u32 v5, v2, 16, 1
	s_delay_alu instid0(VALU_DEP_1) | instskip(NEXT) | instid1(VALU_DEP_1)
	v_add3_u32 v5, v2, v5, 0x7fff
	v_and_b32_e32 v5, 0xffff0000, v5
	v_cmp_o_f32_e32 vcc_lo, v2, v2
	s_delay_alu instid0(VALU_DEP_2) | instskip(NEXT) | instid1(VALU_DEP_1)
	v_dual_cndmask_b32 v2, 0x7fc00000, v5 :: v_dual_lshlrev_b32 v5, 16, v3
	v_mul_f32_e32 v2, v2, v5
	s_delay_alu instid0(VALU_DEP_1) | instskip(SKIP_1) | instid1(VALU_DEP_2)
	v_bfe_u32 v5, v2, 16, 1
	v_cmp_o_f32_e32 vcc_lo, v2, v2
	v_add3_u32 v5, v2, v5, 0x7fff
	s_delay_alu instid0(VALU_DEP_1) | instskip(NEXT) | instid1(VALU_DEP_1)
	v_and_b32_e32 v5, 0xffff0000, v5
	v_cndmask_b32_e32 v2, 0x7fc00000, v5, vcc_lo
	s_delay_alu instid0(VALU_DEP_1) | instskip(NEXT) | instid1(VALU_DEP_1)
	v_mul_f32_e32 v2, v15, v2
	v_minmax_f32 v6, v2, s13, 0xc3600000
	s_delay_alu instid0(VALU_DEP_1) | instskip(SKIP_1) | instid1(VALU_DEP_2)
	v_lshrrev_b32_e32 v5, 24, v6
	v_and_b32_e32 v9, 0x7f800000, v6
	v_or_b32_e32 v2, 0x7f, v5
	s_delay_alu instid0(VALU_DEP_2)
	v_cmpx_ne_u64_e32 0x7f800000, v[9:10]
	s_xor_b32 s14, exec_lo, s0
	s_cbranch_execz .LBB26_82
; %bb.73:                               ;   in Loop: Header=BB26_32 Depth=1
	v_and_b32_e32 v9, 0x7fffffff, v6
	s_mov_b32 s0, exec_lo
	s_delay_alu instid0(VALU_DEP_1)
	v_cmpx_gt_u64_e32 0x43700001, v[9:10]
	s_xor_b32 s15, exec_lo, s0
	s_cbranch_execz .LBB26_81
; %bb.74:                               ;   in Loop: Header=BB26_32 Depth=1
	v_mov_b32_e32 v2, 0
	s_mov_b32 s16, exec_lo
	v_cmpx_ne_u32_e32 0, v6
	s_cbranch_execz .LBB26_80
; %bb.75:                               ;   in Loop: Header=BB26_32 Depth=1
	v_bfe_u32 v19, v6, 23, 8
	v_and_b32_e32 v2, 0x7fffff, v6
	s_delay_alu instid0(VALU_DEP_2) | instskip(SKIP_2) | instid1(VALU_DEP_3)
	v_sub_nc_u32_e64 v1, 0x78, v19 clamp
	v_cmp_eq_u32_e32 vcc_lo, 0, v19
	v_add_nc_u32_e32 v19, 0xffffff89, v19
	v_cndmask_b32_e64 v6, v1, 0x77, vcc_lo
	v_or_b32_e32 v1, 0x800000, v2
	s_delay_alu instid0(VALU_DEP_2) | instskip(NEXT) | instid1(VALU_DEP_2)
	v_add_nc_u32_e32 v11, 20, v6
	v_cndmask_b32_e32 v9, v1, v2, vcc_lo
	s_delay_alu instid0(VALU_DEP_2) | instskip(SKIP_1) | instid1(VALU_DEP_3)
	v_lshlrev_b64 v[1:2], v11, -1
	v_add_nc_u32_e32 v11, 19, v6
	v_lshrrev_b64 v[17:18], v6, v[9:10]
	v_mov_b32_e32 v2, v10
	s_delay_alu instid0(VALU_DEP_3) | instskip(SKIP_1) | instid1(VALU_DEP_1)
	v_lshlrev_b64 v[11:12], v11, 1
	v_not_b32_e32 v1, v1
	v_and_b32_e32 v1, v9, v1
	v_and_b32_e32 v9, 0x100000, v17
	s_delay_alu instid0(VALU_DEP_2) | instskip(NEXT) | instid1(VALU_DEP_2)
	v_cmp_eq_u64_e64 s0, v[1:2], v[11:12]
	v_cmp_eq_u64_e64 s1, 0, v[9:10]
	v_cndmask_b32_e64 v1, v19, 0xffffff8a, vcc_lo
	v_lshrrev_b32_e32 v2, 23, v17
	s_delay_alu instid0(VALU_DEP_3) | instskip(NEXT) | instid1(VALU_DEP_1)
	s_and_b32 vcc_lo, s1, s0
	v_add3_u32 v11, v1, v6, v2
	v_subrev_co_ci_u32_e32 v9, vcc_lo, 0, v17, vcc_lo
	s_mov_b32 s0, exec_lo
                                        ; implicit-def: $vgpr6
	s_delay_alu instid0(VALU_DEP_2) | instskip(NEXT) | instid1(VALU_DEP_2)
	v_add_nc_u32_e32 v12, -1, v11
	v_and_b32_e32 v1, 0xfffff, v9
	s_delay_alu instid0(VALU_DEP_1) | instskip(SKIP_1) | instid1(VALU_DEP_4)
	v_add_co_u32 v1, vcc_lo, v1, v17
	v_add_co_ci_u32_e32 v2, vcc_lo, 0, v18, vcc_lo
	v_cmpx_ne_u32_e32 0, v12
	s_xor_b32 s0, exec_lo, s0
; %bb.76:                               ;   in Loop: Header=BB26_32 Depth=1
	s_delay_alu instid0(VALU_DEP_3) | instskip(SKIP_1) | instid1(VALU_DEP_2)
	v_and_b32_e32 v9, 0x1000000, v1
	v_bfe_u32 v6, v1, 24, 1
	v_cmp_eq_u64_e32 vcc_lo, 0, v[9:10]
	s_delay_alu instid0(VALU_DEP_2)
	v_lshrrev_b64 v[1:2], v6, v[1:2]
	v_cndmask_b32_e32 v6, v11, v12, vcc_lo
; %bb.77:                               ;   in Loop: Header=BB26_32 Depth=1
	s_and_not1_saveexec_b32 s0, s0
; %bb.78:                               ;   in Loop: Header=BB26_32 Depth=1
	s_delay_alu instid0(VALU_DEP_2)
	v_bfe_u32 v6, v1, 23, 1
; %bb.79:                               ;   in Loop: Header=BB26_32 Depth=1
	s_or_b32 exec_lo, exec_lo, s0
	s_delay_alu instid0(VALU_DEP_3) | instskip(NEXT) | instid1(VALU_DEP_2)
	v_lshrrev_b64 v[1:2], 20, v[1:2]
	v_cmp_gt_i32_e32 vcc_lo, 16, v6
	v_and_b32_e32 v5, 0x80, v5
	v_min_i32_e32 v9, 15, v6
	v_cmp_eq_u32_e64 s0, 0, v6
	v_dual_cndmask_b32 v2, 0, v2 :: v_dual_cndmask_b32 v1, 7, v1
	s_delay_alu instid0(VALU_DEP_3) | instskip(NEXT) | instid1(VALU_DEP_2)
	v_lshl_or_b32 v5, v9, 3, v5
	v_cmp_eq_u64_e32 vcc_lo, 0, v[1:2]
	s_delay_alu instid0(VALU_DEP_2)
	v_and_or_b32 v1, v1, 7, v5
	s_and_b32 s0, s0, vcc_lo
	s_delay_alu instid0(VALU_DEP_1) | instid1(SALU_CYCLE_1)
	v_cndmask_b32_e64 v2, v1, 0, s0
.LBB26_80:                              ;   in Loop: Header=BB26_32 Depth=1
	s_or_b32 exec_lo, exec_lo, s16
.LBB26_81:                              ;   in Loop: Header=BB26_32 Depth=1
	s_and_not1_saveexec_b32 s0, s15
	s_delay_alu instid0(SALU_CYCLE_1)
	s_or_b32 exec_lo, exec_lo, s0
.LBB26_82:                              ;   in Loop: Header=BB26_32 Depth=1
	s_and_not1_saveexec_b32 s0, s14
	s_delay_alu instid0(SALU_CYCLE_1) | instskip(SKIP_3) | instid1(VALU_DEP_2)
	s_or_b32 exec_lo, exec_lo, s0
	v_and_b32_e32 v1, 0xffff0000, v7
	v_and_b32_e32 v3, 0xffff0000, v3
	s_mov_b32 s0, exec_lo
	v_dual_mul_f32 v1, v13, v1 :: v_dual_add_nc_u32 v6, 4, v14
	global_store_b8 v6, v2, s[2:3]
	v_bfe_u32 v5, v1, 16, 1
	v_cmp_o_f32_e32 vcc_lo, v1, v1
	s_delay_alu instid0(VALU_DEP_2) | instskip(NEXT) | instid1(VALU_DEP_1)
	v_add3_u32 v5, v1, v5, 0x7fff
	v_and_b32_e32 v5, 0xffff0000, v5
	s_delay_alu instid0(VALU_DEP_1) | instskip(NEXT) | instid1(VALU_DEP_1)
	v_cndmask_b32_e32 v1, 0x7fc00000, v5, vcc_lo
	v_mul_f32_e32 v1, v1, v3
	s_delay_alu instid0(VALU_DEP_1) | instskip(SKIP_1) | instid1(VALU_DEP_2)
	v_bfe_u32 v3, v1, 16, 1
	v_cmp_o_f32_e32 vcc_lo, v1, v1
	v_add3_u32 v3, v1, v3, 0x7fff
	s_delay_alu instid0(VALU_DEP_1) | instskip(NEXT) | instid1(VALU_DEP_1)
	v_and_b32_e32 v3, 0xffff0000, v3
	v_cndmask_b32_e32 v1, 0x7fc00000, v3, vcc_lo
	s_delay_alu instid0(VALU_DEP_1) | instskip(NEXT) | instid1(VALU_DEP_1)
	v_mul_f32_e32 v1, v15, v1
	v_minmax_f32 v5, v1, s13, 0xc3600000
	s_delay_alu instid0(VALU_DEP_1) | instskip(SKIP_1) | instid1(VALU_DEP_2)
	v_lshrrev_b32_e32 v3, 24, v5
	v_and_b32_e32 v9, 0x7f800000, v5
	v_or_b32_e32 v1, 0x7f, v3
	s_delay_alu instid0(VALU_DEP_2)
	v_cmpx_ne_u64_e32 0x7f800000, v[9:10]
	s_xor_b32 s14, exec_lo, s0
	s_cbranch_execz .LBB26_92
; %bb.83:                               ;   in Loop: Header=BB26_32 Depth=1
	v_and_b32_e32 v9, 0x7fffffff, v5
	s_mov_b32 s0, exec_lo
	s_delay_alu instid0(VALU_DEP_1)
	v_cmpx_gt_u64_e32 0x43700001, v[9:10]
	s_xor_b32 s15, exec_lo, s0
	s_cbranch_execz .LBB26_91
; %bb.84:                               ;   in Loop: Header=BB26_32 Depth=1
	v_mov_b32_e32 v1, 0
	s_mov_b32 s16, exec_lo
	v_cmpx_ne_u32_e32 0, v5
	s_cbranch_execz .LBB26_90
; %bb.85:                               ;   in Loop: Header=BB26_32 Depth=1
	v_bfe_u32 v7, v5, 23, 8
	v_and_b32_e32 v2, 0x7fffff, v5
	s_delay_alu instid0(VALU_DEP_2) | instskip(SKIP_2) | instid1(VALU_DEP_3)
	v_sub_nc_u32_e64 v1, 0x78, v7 clamp
	v_cmp_eq_u32_e32 vcc_lo, 0, v7
	v_add_nc_u32_e32 v7, 0xffffff89, v7
	v_cndmask_b32_e64 v17, v1, 0x77, vcc_lo
	v_or_b32_e32 v1, 0x800000, v2
	s_delay_alu instid0(VALU_DEP_2) | instskip(NEXT) | instid1(VALU_DEP_2)
	v_add_nc_u32_e32 v5, 20, v17
	v_cndmask_b32_e32 v9, v1, v2, vcc_lo
	s_delay_alu instid0(VALU_DEP_2) | instskip(SKIP_1) | instid1(VALU_DEP_3)
	v_lshlrev_b64 v[1:2], v5, -1
	v_dual_mov_b32 v2, v10 :: v_dual_add_nc_u32 v5, 19, v17
	v_lshrrev_b64 v[11:12], v17, v[9:10]
	s_delay_alu instid0(VALU_DEP_3) | instskip(NEXT) | instid1(VALU_DEP_3)
	v_not_b32_e32 v1, v1
	v_lshlrev_b64 v[5:6], v5, 1
	s_delay_alu instid0(VALU_DEP_2) | instskip(NEXT) | instid1(VALU_DEP_4)
	v_and_b32_e32 v1, v9, v1
	v_and_b32_e32 v9, 0x100000, v11
	s_delay_alu instid0(VALU_DEP_2) | instskip(NEXT) | instid1(VALU_DEP_2)
	v_cmp_eq_u64_e64 s0, v[1:2], v[5:6]
	v_cmp_eq_u64_e64 s1, 0, v[9:10]
	v_cndmask_b32_e64 v1, v7, 0xffffff8a, vcc_lo
	v_lshrrev_b32_e32 v2, 23, v11
	s_delay_alu instid0(VALU_DEP_3) | instskip(NEXT) | instid1(VALU_DEP_1)
	s_and_b32 vcc_lo, s1, s0
	v_add3_u32 v6, v1, v17, v2
	v_subrev_co_ci_u32_e32 v5, vcc_lo, 0, v11, vcc_lo
	s_mov_b32 s0, exec_lo
	s_delay_alu instid0(VALU_DEP_2) | instskip(NEXT) | instid1(VALU_DEP_2)
	v_add_nc_u32_e32 v7, -1, v6
	v_and_b32_e32 v1, 0xfffff, v5
                                        ; implicit-def: $vgpr5
	s_delay_alu instid0(VALU_DEP_1) | instskip(SKIP_1) | instid1(VALU_DEP_4)
	v_add_co_u32 v1, vcc_lo, v1, v11
	v_add_co_ci_u32_e32 v2, vcc_lo, 0, v12, vcc_lo
	v_cmpx_ne_u32_e32 0, v7
	s_xor_b32 s0, exec_lo, s0
; %bb.86:                               ;   in Loop: Header=BB26_32 Depth=1
	s_delay_alu instid0(VALU_DEP_3) | instskip(SKIP_1) | instid1(VALU_DEP_2)
	v_and_b32_e32 v9, 0x1000000, v1
	v_bfe_u32 v5, v1, 24, 1
	v_cmp_eq_u64_e32 vcc_lo, 0, v[9:10]
	s_delay_alu instid0(VALU_DEP_2)
	v_lshrrev_b64 v[1:2], v5, v[1:2]
	v_cndmask_b32_e32 v5, v6, v7, vcc_lo
; %bb.87:                               ;   in Loop: Header=BB26_32 Depth=1
	s_and_not1_saveexec_b32 s0, s0
; %bb.88:                               ;   in Loop: Header=BB26_32 Depth=1
	s_delay_alu instid0(VALU_DEP_2)
	v_bfe_u32 v5, v1, 23, 1
; %bb.89:                               ;   in Loop: Header=BB26_32 Depth=1
	s_or_b32 exec_lo, exec_lo, s0
	s_delay_alu instid0(VALU_DEP_3) | instskip(NEXT) | instid1(VALU_DEP_2)
	v_lshrrev_b64 v[1:2], 20, v[1:2]
	v_cmp_gt_i32_e32 vcc_lo, 16, v5
	v_and_b32_e32 v3, 0x80, v3
	v_min_i32_e32 v6, 15, v5
	v_cmp_eq_u32_e64 s0, 0, v5
	v_dual_cndmask_b32 v2, 0, v2 :: v_dual_cndmask_b32 v1, 7, v1
	s_delay_alu instid0(VALU_DEP_3) | instskip(NEXT) | instid1(VALU_DEP_2)
	v_lshl_or_b32 v3, v6, 3, v3
	v_cmp_eq_u64_e32 vcc_lo, 0, v[1:2]
	s_delay_alu instid0(VALU_DEP_2)
	v_and_or_b32 v1, v1, 7, v3
	s_and_b32 s0, s0, vcc_lo
	s_delay_alu instid0(VALU_DEP_1) | instid1(SALU_CYCLE_1)
	v_cndmask_b32_e64 v1, v1, 0, s0
.LBB26_90:                              ;   in Loop: Header=BB26_32 Depth=1
	s_or_b32 exec_lo, exec_lo, s16
.LBB26_91:                              ;   in Loop: Header=BB26_32 Depth=1
	s_and_not1_saveexec_b32 s0, s15
	s_delay_alu instid0(SALU_CYCLE_1)
	s_or_b32 exec_lo, exec_lo, s0
.LBB26_92:                              ;   in Loop: Header=BB26_32 Depth=1
	s_and_not1_saveexec_b32 s0, s14
	s_delay_alu instid0(SALU_CYCLE_1) | instskip(SKIP_3) | instid1(VALU_DEP_2)
	s_or_b32 exec_lo, exec_lo, s0
	v_lshlrev_b32_e32 v2, 16, v8
	v_add_nc_u32_e32 v6, 5, v14
	s_mov_b32 s0, exec_lo
	v_mul_f32_e32 v2, v13, v2
	global_store_b8 v6, v1, s[2:3]
	v_bfe_u32 v3, v2, 16, 1
	s_delay_alu instid0(VALU_DEP_1) | instskip(NEXT) | instid1(VALU_DEP_1)
	v_add3_u32 v3, v2, v3, 0x7fff
	v_and_b32_e32 v3, 0xffff0000, v3
	v_cmp_o_f32_e32 vcc_lo, v2, v2
	s_delay_alu instid0(VALU_DEP_2) | instskip(NEXT) | instid1(VALU_DEP_1)
	v_dual_cndmask_b32 v2, 0x7fc00000, v3 :: v_dual_lshlrev_b32 v3, 16, v4
	v_mul_f32_e32 v2, v2, v3
	s_delay_alu instid0(VALU_DEP_1) | instskip(SKIP_1) | instid1(VALU_DEP_2)
	v_bfe_u32 v3, v2, 16, 1
	v_cmp_o_f32_e32 vcc_lo, v2, v2
	v_add3_u32 v3, v2, v3, 0x7fff
	s_delay_alu instid0(VALU_DEP_1) | instskip(NEXT) | instid1(VALU_DEP_1)
	v_and_b32_e32 v3, 0xffff0000, v3
	v_cndmask_b32_e32 v2, 0x7fc00000, v3, vcc_lo
	s_delay_alu instid0(VALU_DEP_1) | instskip(NEXT) | instid1(VALU_DEP_1)
	v_mul_f32_e32 v2, v15, v2
	v_minmax_f32 v5, v2, s13, 0xc3600000
	s_delay_alu instid0(VALU_DEP_1) | instskip(SKIP_1) | instid1(VALU_DEP_2)
	v_lshrrev_b32_e32 v3, 24, v5
	v_and_b32_e32 v9, 0x7f800000, v5
	v_or_b32_e32 v2, 0x7f, v3
	s_delay_alu instid0(VALU_DEP_2)
	v_cmpx_ne_u64_e32 0x7f800000, v[9:10]
	s_xor_b32 s14, exec_lo, s0
	s_cbranch_execz .LBB26_102
; %bb.93:                               ;   in Loop: Header=BB26_32 Depth=1
	v_and_b32_e32 v9, 0x7fffffff, v5
	s_mov_b32 s0, exec_lo
	s_delay_alu instid0(VALU_DEP_1)
	v_cmpx_gt_u64_e32 0x43700001, v[9:10]
	s_xor_b32 s15, exec_lo, s0
	s_cbranch_execz .LBB26_101
; %bb.94:                               ;   in Loop: Header=BB26_32 Depth=1
	v_mov_b32_e32 v2, 0
	s_mov_b32 s16, exec_lo
	v_cmpx_ne_u32_e32 0, v5
	s_cbranch_execz .LBB26_100
; %bb.95:                               ;   in Loop: Header=BB26_32 Depth=1
	v_bfe_u32 v7, v5, 23, 8
	v_and_b32_e32 v2, 0x7fffff, v5
	s_delay_alu instid0(VALU_DEP_2) | instskip(SKIP_2) | instid1(VALU_DEP_3)
	v_sub_nc_u32_e64 v1, 0x78, v7 clamp
	v_cmp_eq_u32_e32 vcc_lo, 0, v7
	v_add_nc_u32_e32 v7, 0xffffff89, v7
	v_cndmask_b32_e64 v17, v1, 0x77, vcc_lo
	v_or_b32_e32 v1, 0x800000, v2
	s_delay_alu instid0(VALU_DEP_2) | instskip(NEXT) | instid1(VALU_DEP_2)
	v_add_nc_u32_e32 v5, 20, v17
	v_cndmask_b32_e32 v9, v1, v2, vcc_lo
	s_delay_alu instid0(VALU_DEP_2) | instskip(SKIP_1) | instid1(VALU_DEP_3)
	v_lshlrev_b64 v[1:2], v5, -1
	v_dual_mov_b32 v2, v10 :: v_dual_add_nc_u32 v5, 19, v17
	v_lshrrev_b64 v[11:12], v17, v[9:10]
	s_delay_alu instid0(VALU_DEP_3) | instskip(NEXT) | instid1(VALU_DEP_3)
	v_not_b32_e32 v1, v1
	v_lshlrev_b64 v[5:6], v5, 1
	s_delay_alu instid0(VALU_DEP_2) | instskip(NEXT) | instid1(VALU_DEP_4)
	v_and_b32_e32 v1, v9, v1
	v_and_b32_e32 v9, 0x100000, v11
	s_delay_alu instid0(VALU_DEP_2) | instskip(NEXT) | instid1(VALU_DEP_2)
	v_cmp_eq_u64_e64 s0, v[1:2], v[5:6]
	v_cmp_eq_u64_e64 s1, 0, v[9:10]
	v_cndmask_b32_e64 v1, v7, 0xffffff8a, vcc_lo
	v_lshrrev_b32_e32 v2, 23, v11
	s_delay_alu instid0(VALU_DEP_3) | instskip(NEXT) | instid1(VALU_DEP_1)
	s_and_b32 vcc_lo, s1, s0
	v_add3_u32 v6, v1, v17, v2
	v_subrev_co_ci_u32_e32 v5, vcc_lo, 0, v11, vcc_lo
	s_mov_b32 s0, exec_lo
	s_delay_alu instid0(VALU_DEP_2) | instskip(NEXT) | instid1(VALU_DEP_2)
	v_add_nc_u32_e32 v7, -1, v6
	v_and_b32_e32 v1, 0xfffff, v5
                                        ; implicit-def: $vgpr5
	s_delay_alu instid0(VALU_DEP_1) | instskip(SKIP_1) | instid1(VALU_DEP_4)
	v_add_co_u32 v1, vcc_lo, v1, v11
	v_add_co_ci_u32_e32 v2, vcc_lo, 0, v12, vcc_lo
	v_cmpx_ne_u32_e32 0, v7
	s_xor_b32 s0, exec_lo, s0
; %bb.96:                               ;   in Loop: Header=BB26_32 Depth=1
	s_delay_alu instid0(VALU_DEP_3) | instskip(SKIP_1) | instid1(VALU_DEP_2)
	v_and_b32_e32 v9, 0x1000000, v1
	v_bfe_u32 v5, v1, 24, 1
	v_cmp_eq_u64_e32 vcc_lo, 0, v[9:10]
	s_delay_alu instid0(VALU_DEP_2)
	v_lshrrev_b64 v[1:2], v5, v[1:2]
	v_cndmask_b32_e32 v5, v6, v7, vcc_lo
; %bb.97:                               ;   in Loop: Header=BB26_32 Depth=1
	s_and_not1_saveexec_b32 s0, s0
; %bb.98:                               ;   in Loop: Header=BB26_32 Depth=1
	s_delay_alu instid0(VALU_DEP_2)
	v_bfe_u32 v5, v1, 23, 1
; %bb.99:                               ;   in Loop: Header=BB26_32 Depth=1
	s_or_b32 exec_lo, exec_lo, s0
	s_delay_alu instid0(VALU_DEP_3) | instskip(NEXT) | instid1(VALU_DEP_2)
	v_lshrrev_b64 v[1:2], 20, v[1:2]
	v_cmp_gt_i32_e32 vcc_lo, 16, v5
	v_and_b32_e32 v3, 0x80, v3
	v_min_i32_e32 v6, 15, v5
	v_cmp_eq_u32_e64 s0, 0, v5
	v_dual_cndmask_b32 v2, 0, v2 :: v_dual_cndmask_b32 v1, 7, v1
	s_delay_alu instid0(VALU_DEP_3) | instskip(NEXT) | instid1(VALU_DEP_2)
	v_lshl_or_b32 v3, v6, 3, v3
	v_cmp_eq_u64_e32 vcc_lo, 0, v[1:2]
	s_delay_alu instid0(VALU_DEP_2)
	v_and_or_b32 v1, v1, 7, v3
	s_and_b32 s0, s0, vcc_lo
	s_delay_alu instid0(VALU_DEP_1) | instid1(SALU_CYCLE_1)
	v_cndmask_b32_e64 v2, v1, 0, s0
.LBB26_100:                             ;   in Loop: Header=BB26_32 Depth=1
	s_or_b32 exec_lo, exec_lo, s16
.LBB26_101:                             ;   in Loop: Header=BB26_32 Depth=1
	s_and_not1_saveexec_b32 s0, s15
	s_delay_alu instid0(SALU_CYCLE_1)
	s_or_b32 exec_lo, exec_lo, s0
.LBB26_102:                             ;   in Loop: Header=BB26_32 Depth=1
	s_and_not1_saveexec_b32 s0, s14
	s_delay_alu instid0(SALU_CYCLE_1) | instskip(SKIP_3) | instid1(VALU_DEP_2)
	s_or_b32 exec_lo, exec_lo, s0
	v_and_b32_e32 v1, 0xffff0000, v8
	v_add_nc_u32_e32 v5, 6, v14
	s_mov_b32 s0, exec_lo
	v_mul_f32_e32 v1, v13, v1
	global_store_b8 v5, v2, s[2:3]
	v_bfe_u32 v3, v1, 16, 1
	v_cmp_o_f32_e32 vcc_lo, v1, v1
	s_delay_alu instid0(VALU_DEP_2) | instskip(NEXT) | instid1(VALU_DEP_1)
	v_add3_u32 v3, v1, v3, 0x7fff
	v_and_b32_e32 v3, 0xffff0000, v3
	s_delay_alu instid0(VALU_DEP_1) | instskip(SKIP_1) | instid1(VALU_DEP_1)
	v_cndmask_b32_e32 v1, 0x7fc00000, v3, vcc_lo
	v_and_b32_e32 v3, 0xffff0000, v4
	v_mul_f32_e32 v1, v1, v3
	s_delay_alu instid0(VALU_DEP_1) | instskip(SKIP_1) | instid1(VALU_DEP_2)
	v_bfe_u32 v3, v1, 16, 1
	v_cmp_o_f32_e32 vcc_lo, v1, v1
	v_add3_u32 v3, v1, v3, 0x7fff
	s_delay_alu instid0(VALU_DEP_1) | instskip(NEXT) | instid1(VALU_DEP_1)
	v_and_b32_e32 v3, 0xffff0000, v3
	v_cndmask_b32_e32 v1, 0x7fc00000, v3, vcc_lo
	s_delay_alu instid0(VALU_DEP_1) | instskip(NEXT) | instid1(VALU_DEP_1)
	v_mul_f32_e32 v1, v15, v1
	v_minmax_f32 v4, v1, s13, 0xc3600000
	s_delay_alu instid0(VALU_DEP_1) | instskip(SKIP_1) | instid1(VALU_DEP_2)
	v_lshrrev_b32_e32 v3, 24, v4
	v_and_b32_e32 v9, 0x7f800000, v4
	v_or_b32_e32 v1, 0x7f, v3
	s_delay_alu instid0(VALU_DEP_2)
	v_cmpx_ne_u64_e32 0x7f800000, v[9:10]
	s_xor_b32 s14, exec_lo, s0
	s_cbranch_execz .LBB26_31
; %bb.103:                              ;   in Loop: Header=BB26_32 Depth=1
	v_and_b32_e32 v9, 0x7fffffff, v4
	s_mov_b32 s0, exec_lo
	s_delay_alu instid0(VALU_DEP_1)
	v_cmpx_gt_u64_e32 0x43700001, v[9:10]
	s_xor_b32 s15, exec_lo, s0
	s_cbranch_execz .LBB26_30
; %bb.104:                              ;   in Loop: Header=BB26_32 Depth=1
	v_mov_b32_e32 v1, 0
	s_mov_b32 s16, exec_lo
	v_cmpx_ne_u32_e32 0, v4
	s_cbranch_execz .LBB26_29
; %bb.105:                              ;   in Loop: Header=BB26_32 Depth=1
	v_bfe_u32 v6, v4, 23, 8
	v_and_b32_e32 v2, 0x7fffff, v4
	s_delay_alu instid0(VALU_DEP_2) | instskip(SKIP_2) | instid1(VALU_DEP_3)
	v_sub_nc_u32_e64 v1, 0x78, v6 clamp
	v_cmp_eq_u32_e32 vcc_lo, 0, v6
	v_add_nc_u32_e32 v6, 0xffffff89, v6
	v_cndmask_b32_e64 v11, v1, 0x77, vcc_lo
	v_or_b32_e32 v1, 0x800000, v2
	s_delay_alu instid0(VALU_DEP_1) | instskip(NEXT) | instid1(VALU_DEP_1)
	v_dual_cndmask_b32 v9, v1, v2 :: v_dual_add_nc_u32 v4, 20, v11
	v_lshlrev_b64 v[1:2], v4, -1
	v_add_nc_u32_e32 v4, 19, v11
	s_delay_alu instid0(VALU_DEP_3) | instskip(NEXT) | instid1(VALU_DEP_2)
	v_lshrrev_b64 v[7:8], v11, v[9:10]
	v_lshlrev_b64 v[4:5], v4, 1
	s_delay_alu instid0(VALU_DEP_4) | instskip(NEXT) | instid1(VALU_DEP_1)
	v_not_b32_e32 v1, v1
	v_dual_mov_b32 v2, v10 :: v_dual_and_b32 v1, v9, v1
	s_delay_alu instid0(VALU_DEP_4) | instskip(NEXT) | instid1(VALU_DEP_2)
	v_and_b32_e32 v9, 0x100000, v7
	v_cmp_eq_u64_e64 s0, v[1:2], v[4:5]
	s_delay_alu instid0(VALU_DEP_2) | instskip(SKIP_2) | instid1(VALU_DEP_3)
	v_cmp_eq_u64_e64 s1, 0, v[9:10]
	v_cndmask_b32_e64 v1, v6, 0xffffff8a, vcc_lo
	v_lshrrev_b32_e32 v2, 23, v7
	s_and_b32 vcc_lo, s1, s0
	s_delay_alu instid0(VALU_DEP_1) | instskip(SKIP_2) | instid1(VALU_DEP_2)
	v_add3_u32 v5, v1, v11, v2
	v_subrev_co_ci_u32_e32 v4, vcc_lo, 0, v7, vcc_lo
	s_mov_b32 s0, exec_lo
	v_add_nc_u32_e32 v6, -1, v5
	s_delay_alu instid0(VALU_DEP_2) | instskip(NEXT) | instid1(VALU_DEP_1)
	v_and_b32_e32 v1, 0xfffff, v4
                                        ; implicit-def: $vgpr4
	v_add_co_u32 v1, vcc_lo, v1, v7
	v_add_co_ci_u32_e32 v2, vcc_lo, 0, v8, vcc_lo
	s_delay_alu instid0(VALU_DEP_4)
	v_cmpx_ne_u32_e32 0, v6
	s_xor_b32 s0, exec_lo, s0
; %bb.106:                              ;   in Loop: Header=BB26_32 Depth=1
	s_delay_alu instid0(VALU_DEP_3) | instskip(SKIP_1) | instid1(VALU_DEP_2)
	v_and_b32_e32 v9, 0x1000000, v1
	v_bfe_u32 v4, v1, 24, 1
	v_cmp_eq_u64_e32 vcc_lo, 0, v[9:10]
	s_delay_alu instid0(VALU_DEP_2)
	v_lshrrev_b64 v[1:2], v4, v[1:2]
	v_cndmask_b32_e32 v4, v5, v6, vcc_lo
; %bb.107:                              ;   in Loop: Header=BB26_32 Depth=1
	s_and_not1_saveexec_b32 s0, s0
	s_cbranch_execz .LBB26_28
; %bb.108:                              ;   in Loop: Header=BB26_32 Depth=1
	s_delay_alu instid0(VALU_DEP_2)
	v_bfe_u32 v4, v1, 23, 1
	s_branch .LBB26_28
.LBB26_109:
	s_nop 0
	s_sendmsg sendmsg(MSG_DEALLOC_VGPRS)
	s_endpgm
	.section	.rodata,"a",@progbits
	.p2align	6, 0x0
	.amdhsa_kernel _ZN4vllm32rms_norm_static_fp8_quant_kernelIN3c108BFloat16ENS1_15Float8_e4m3fnuzELi8EEEvPT0_PKT_iS8_PKffii
		.amdhsa_group_segment_fixed_size 132
		.amdhsa_private_segment_fixed_size 0
		.amdhsa_kernarg_size 312
		.amdhsa_user_sgpr_count 15
		.amdhsa_user_sgpr_dispatch_ptr 0
		.amdhsa_user_sgpr_queue_ptr 0
		.amdhsa_user_sgpr_kernarg_segment_ptr 1
		.amdhsa_user_sgpr_dispatch_id 0
		.amdhsa_user_sgpr_private_segment_size 0
		.amdhsa_wavefront_size32 1
		.amdhsa_uses_dynamic_stack 0
		.amdhsa_enable_private_segment 0
		.amdhsa_system_sgpr_workgroup_id_x 1
		.amdhsa_system_sgpr_workgroup_id_y 0
		.amdhsa_system_sgpr_workgroup_id_z 0
		.amdhsa_system_sgpr_workgroup_info 0
		.amdhsa_system_vgpr_workitem_id 0
		.amdhsa_next_free_vgpr 24
		.amdhsa_next_free_sgpr 20
		.amdhsa_reserve_vcc 1
		.amdhsa_float_round_mode_32 0
		.amdhsa_float_round_mode_16_64 0
		.amdhsa_float_denorm_mode_32 3
		.amdhsa_float_denorm_mode_16_64 3
		.amdhsa_dx10_clamp 1
		.amdhsa_ieee_mode 1
		.amdhsa_fp16_overflow 0
		.amdhsa_workgroup_processor_mode 1
		.amdhsa_memory_ordered 1
		.amdhsa_forward_progress 0
		.amdhsa_shared_vgpr_count 0
		.amdhsa_exception_fp_ieee_invalid_op 0
		.amdhsa_exception_fp_denorm_src 0
		.amdhsa_exception_fp_ieee_div_zero 0
		.amdhsa_exception_fp_ieee_overflow 0
		.amdhsa_exception_fp_ieee_underflow 0
		.amdhsa_exception_fp_ieee_inexact 0
		.amdhsa_exception_int_div_zero 0
	.end_amdhsa_kernel
	.section	.text._ZN4vllm32rms_norm_static_fp8_quant_kernelIN3c108BFloat16ENS1_15Float8_e4m3fnuzELi8EEEvPT0_PKT_iS8_PKffii,"axG",@progbits,_ZN4vllm32rms_norm_static_fp8_quant_kernelIN3c108BFloat16ENS1_15Float8_e4m3fnuzELi8EEEvPT0_PKT_iS8_PKffii,comdat
.Lfunc_end26:
	.size	_ZN4vllm32rms_norm_static_fp8_quant_kernelIN3c108BFloat16ENS1_15Float8_e4m3fnuzELi8EEEvPT0_PKT_iS8_PKffii, .Lfunc_end26-_ZN4vllm32rms_norm_static_fp8_quant_kernelIN3c108BFloat16ENS1_15Float8_e4m3fnuzELi8EEEvPT0_PKT_iS8_PKffii
                                        ; -- End function
	.section	.AMDGPU.csdata,"",@progbits
; Kernel info:
; codeLenInByte = 7304
; NumSgprs: 22
; NumVgprs: 24
; ScratchSize: 0
; MemoryBound: 0
; FloatMode: 240
; IeeeMode: 1
; LDSByteSize: 132 bytes/workgroup (compile time only)
; SGPRBlocks: 2
; VGPRBlocks: 2
; NumSGPRsForWavesPerEU: 22
; NumVGPRsForWavesPerEU: 24
; Occupancy: 16
; WaveLimiterHint : 0
; COMPUTE_PGM_RSRC2:SCRATCH_EN: 0
; COMPUTE_PGM_RSRC2:USER_SGPR: 15
; COMPUTE_PGM_RSRC2:TRAP_HANDLER: 0
; COMPUTE_PGM_RSRC2:TGID_X_EN: 1
; COMPUTE_PGM_RSRC2:TGID_Y_EN: 0
; COMPUTE_PGM_RSRC2:TGID_Z_EN: 0
; COMPUTE_PGM_RSRC2:TIDIG_COMP_CNT: 0
	.section	.text._ZN4vllm32rms_norm_static_fp8_quant_kernelIN3c108BFloat16ENS1_15Float8_e4m3fnuzELi4EEEvPT0_PKT_iS8_PKffii,"axG",@progbits,_ZN4vllm32rms_norm_static_fp8_quant_kernelIN3c108BFloat16ENS1_15Float8_e4m3fnuzELi4EEEvPT0_PKT_iS8_PKffii,comdat
	.protected	_ZN4vllm32rms_norm_static_fp8_quant_kernelIN3c108BFloat16ENS1_15Float8_e4m3fnuzELi4EEEvPT0_PKT_iS8_PKffii ; -- Begin function _ZN4vllm32rms_norm_static_fp8_quant_kernelIN3c108BFloat16ENS1_15Float8_e4m3fnuzELi4EEEvPT0_PKT_iS8_PKffii
	.globl	_ZN4vllm32rms_norm_static_fp8_quant_kernelIN3c108BFloat16ENS1_15Float8_e4m3fnuzELi4EEEvPT0_PKT_iS8_PKffii
	.p2align	8
	.type	_ZN4vllm32rms_norm_static_fp8_quant_kernelIN3c108BFloat16ENS1_15Float8_e4m3fnuzELi4EEEvPT0_PKT_iS8_PKffii,@function
_ZN4vllm32rms_norm_static_fp8_quant_kernelIN3c108BFloat16ENS1_15Float8_e4m3fnuzELi4EEEvPT0_PKT_iS8_PKffii: ; @_ZN4vllm32rms_norm_static_fp8_quant_kernelIN3c108BFloat16ENS1_15Float8_e4m3fnuzELi4EEEvPT0_PKT_iS8_PKffii
; %bb.0:
	s_clause 0x3
	s_load_b32 s2, s[0:1], 0x10
	s_load_b64 s[4:5], s[0:1], 0x8
	s_load_b32 s8, s[0:1], 0x44
	s_load_b32 s13, s[0:1], 0x30
	s_mov_b32 s3, 0
	s_waitcnt lgkmcnt(0)
	s_mul_i32 s2, s15, s2
	s_delay_alu instid0(SALU_CYCLE_1) | instskip(NEXT) | instid1(SALU_CYCLE_1)
	s_lshl_b64 s[6:7], s[2:3], 1
	s_add_u32 s10, s4, s6
	s_addc_u32 s11, s5, s7
	s_and_b32 s2, s10, 7
	s_and_b32 s12, s8, 0xffff
	s_cmp_lg_u64 s[2:3], 0
	s_cselect_b32 s2, -1, 0
	s_and_b32 s3, s13, 3
	s_delay_alu instid0(SALU_CYCLE_1) | instskip(SKIP_1) | instid1(SALU_CYCLE_1)
	s_cmp_lg_u32 s3, 0
	s_cselect_b32 s3, -1, 0
	s_or_b32 s2, s2, s3
	s_delay_alu instid0(SALU_CYCLE_1)
	s_and_b32 vcc_lo, exec_lo, s2
	s_cbranch_vccz .LBB27_14
; %bb.1:
	s_sub_i32 s2, 0, s10
	v_mov_b32_e32 v4, 0
	s_bfe_u32 s2, s2, 0x20001
	s_mov_b32 s3, exec_lo
	s_min_i32 s8, s2, s13
	s_delay_alu instid0(SALU_CYCLE_1)
	v_cmpx_gt_i32_e64 s8, v0
	s_cbranch_execz .LBB27_5
; %bb.2:
	v_dual_mov_b32 v4, 0 :: v_dual_lshlrev_b32 v1, 1, v0
	s_add_u32 s2, s4, s6
	s_addc_u32 s9, s5, s7
	v_mov_b32_e32 v3, v0
	s_delay_alu instid0(VALU_DEP_2) | instskip(NEXT) | instid1(VALU_DEP_1)
	v_add_co_u32 v1, s2, s2, v1
	v_add_co_ci_u32_e64 v2, null, s9, 0, s2
	s_mov_b32 s9, 0
	s_lshl_b32 s14, s12, 1
.LBB27_3:                               ; =>This Inner Loop Header: Depth=1
	global_load_u16 v5, v[1:2], off
	v_add_co_u32 v1, vcc_lo, v1, s14
	v_add_co_ci_u32_e32 v2, vcc_lo, 0, v2, vcc_lo
	s_waitcnt vmcnt(0)
	v_lshlrev_b32_e32 v5, 16, v5
	s_delay_alu instid0(VALU_DEP_1) | instskip(NEXT) | instid1(VALU_DEP_1)
	v_dual_fmac_f32 v4, v5, v5 :: v_dual_add_nc_u32 v3, s12, v3
	v_cmp_le_i32_e64 s2, s8, v3
	s_delay_alu instid0(VALU_DEP_1) | instskip(NEXT) | instid1(SALU_CYCLE_1)
	s_or_b32 s9, s2, s9
	s_and_not1_b32 exec_lo, exec_lo, s9
	s_cbranch_execnz .LBB27_3
; %bb.4:
	s_or_b32 exec_lo, exec_lo, s9
.LBB27_5:
	s_delay_alu instid0(SALU_CYCLE_1)
	s_or_b32 exec_lo, exec_lo, s3
	s_sub_i32 s3, s13, s8
	s_ashr_i32 s9, s8, 31
	s_ashr_i32 s2, s3, 31
	s_mov_b32 s16, exec_lo
	s_lshr_b32 s2, s2, 30
	s_delay_alu instid0(SALU_CYCLE_1) | instskip(NEXT) | instid1(SALU_CYCLE_1)
	s_add_i32 s2, s3, s2
	s_ashr_i32 s14, s2, 2
	s_delay_alu instid0(SALU_CYCLE_1)
	v_cmpx_gt_i32_e64 s14, v0
	s_cbranch_execz .LBB27_9
; %bb.6:
	v_lshlrev_b32_e32 v1, 3, v0
	s_lshl_b64 s[18:19], s[8:9], 1
	s_add_u32 s2, s4, s6
	s_addc_u32 s17, s5, s7
	s_add_u32 s2, s2, s18
	s_addc_u32 s17, s17, s19
	v_add_co_u32 v1, s2, s2, v1
	s_delay_alu instid0(VALU_DEP_1) | instskip(SKIP_1) | instid1(VALU_DEP_3)
	v_add_co_ci_u32_e64 v2, null, s17, 0, s2
	v_mov_b32_e32 v3, v0
	v_add_co_u32 v1, vcc_lo, v1, 4
	s_delay_alu instid0(VALU_DEP_3)
	v_add_co_ci_u32_e32 v2, vcc_lo, 0, v2, vcc_lo
	s_mov_b32 s17, 0
	s_lshl_b32 s18, s12, 3
	.p2align	6
.LBB27_7:                               ; =>This Inner Loop Header: Depth=1
	global_load_b64 v[5:6], v[1:2], off offset:-4
	v_add_co_u32 v1, vcc_lo, v1, s18
	v_add_co_ci_u32_e32 v2, vcc_lo, 0, v2, vcc_lo
	s_waitcnt vmcnt(0)
	v_lshlrev_b32_e32 v7, 16, v5
	s_delay_alu instid0(VALU_DEP_1) | instskip(NEXT) | instid1(VALU_DEP_1)
	v_dual_fmac_f32 v4, v7, v7 :: v_dual_and_b32 v5, 0xffff0000, v5
	v_dual_fmac_f32 v4, v5, v5 :: v_dual_lshlrev_b32 v7, 16, v6
	s_delay_alu instid0(VALU_DEP_1) | instskip(NEXT) | instid1(VALU_DEP_1)
	v_dual_fmac_f32 v4, v7, v7 :: v_dual_and_b32 v5, 0xffff0000, v6
	v_dual_fmac_f32 v4, v5, v5 :: v_dual_add_nc_u32 v3, s12, v3
	s_delay_alu instid0(VALU_DEP_1) | instskip(NEXT) | instid1(VALU_DEP_1)
	v_cmp_le_i32_e64 s2, s14, v3
	s_or_b32 s17, s2, s17
	s_delay_alu instid0(SALU_CYCLE_1)
	s_and_not1_b32 exec_lo, exec_lo, s17
	s_cbranch_execnz .LBB27_7
; %bb.8:
	s_or_b32 exec_lo, exec_lo, s17
.LBB27_9:
	s_delay_alu instid0(SALU_CYCLE_1) | instskip(SKIP_2) | instid1(VALU_DEP_1)
	s_or_b32 exec_lo, exec_lo, s16
	v_lshl_add_u32 v1, s14, 2, v0
	s_mov_b32 s14, exec_lo
	v_cmpx_gt_i32_e64 s3, v1
	s_cbranch_execz .LBB27_13
; %bb.10:
	v_ashrrev_i32_e32 v2, 31, v1
	s_lshl_b64 s[8:9], s[8:9], 1
	s_add_u32 s2, s4, s6
	s_addc_u32 s16, s5, s7
	s_add_u32 s2, s2, s8
	v_lshlrev_b64 v[2:3], 1, v[1:2]
	s_addc_u32 s8, s16, s9
	s_lshl_b32 s9, s12, 1
	s_delay_alu instid0(VALU_DEP_1) | instskip(NEXT) | instid1(VALU_DEP_2)
	v_add_co_u32 v2, vcc_lo, s2, v2
	v_add_co_ci_u32_e32 v3, vcc_lo, s8, v3, vcc_lo
	s_mov_b32 s8, 0
.LBB27_11:                              ; =>This Inner Loop Header: Depth=1
	global_load_u16 v5, v[2:3], off
	v_add_nc_u32_e32 v1, s12, v1
	v_add_co_u32 v2, vcc_lo, v2, s9
	v_add_co_ci_u32_e32 v3, vcc_lo, 0, v3, vcc_lo
	s_delay_alu instid0(VALU_DEP_3) | instskip(NEXT) | instid1(VALU_DEP_1)
	v_cmp_le_i32_e64 s2, s3, v1
	s_or_b32 s8, s2, s8
	s_waitcnt vmcnt(0)
	v_lshlrev_b32_e32 v5, 16, v5
	s_delay_alu instid0(VALU_DEP_1)
	v_fmac_f32_e32 v4, v5, v5
	s_and_not1_b32 exec_lo, exec_lo, s8
	s_cbranch_execnz .LBB27_11
; %bb.12:
	s_or_b32 exec_lo, exec_lo, s8
.LBB27_13:
	s_delay_alu instid0(SALU_CYCLE_1)
	s_or_b32 exec_lo, exec_lo, s14
	s_branch .LBB27_20
.LBB27_14:
                                        ; implicit-def: $vgpr4
	s_cbranch_execz .LBB27_20
; %bb.15:
	v_mov_b32_e32 v4, 0
	s_ashr_i32 s8, s13, 2
	s_mov_b32 s3, exec_lo
	v_cmpx_gt_i32_e64 s8, v0
	s_cbranch_execz .LBB27_19
; %bb.16:
	v_dual_mov_b32 v4, 0 :: v_dual_lshlrev_b32 v1, 3, v0
	s_add_u32 s2, s4, s6
	s_addc_u32 s4, s5, s7
	v_mov_b32_e32 v3, v0
	s_delay_alu instid0(VALU_DEP_2) | instskip(NEXT) | instid1(VALU_DEP_1)
	v_add_co_u32 v1, s2, s2, v1
	v_add_co_ci_u32_e64 v2, null, s4, 0, s2
	s_mov_b32 s4, 0
	s_lshl_b32 s5, s12, 3
	.p2align	6
.LBB27_17:                              ; =>This Inner Loop Header: Depth=1
	global_load_b64 v[5:6], v[1:2], off
	v_add_co_u32 v1, vcc_lo, v1, s5
	v_add_co_ci_u32_e32 v2, vcc_lo, 0, v2, vcc_lo
	s_waitcnt vmcnt(0)
	v_and_b32_e32 v8, 0xffff0000, v5
	v_lshlrev_b32_e32 v7, 16, v5
	v_alignbit_b32 v5, v6, v5, 16
	v_and_b32_e32 v6, 0xffff0000, v6
	s_delay_alu instid0(VALU_DEP_2) | instskip(NEXT) | instid1(VALU_DEP_1)
	v_dual_fmac_f32 v4, v7, v7 :: v_dual_and_b32 v5, 0xffff0000, v5
	v_dual_fmac_f32 v4, v8, v8 :: v_dual_add_nc_u32 v3, s12, v3
	s_delay_alu instid0(VALU_DEP_1) | instskip(NEXT) | instid1(VALU_DEP_2)
	v_fmac_f32_e32 v4, v5, v5
	v_cmp_le_i32_e64 s2, s8, v3
	s_delay_alu instid0(VALU_DEP_2) | instskip(NEXT) | instid1(VALU_DEP_2)
	v_fmac_f32_e32 v4, v6, v6
	s_or_b32 s4, s2, s4
	s_delay_alu instid0(SALU_CYCLE_1)
	s_and_not1_b32 exec_lo, exec_lo, s4
	s_cbranch_execnz .LBB27_17
; %bb.18:
	s_or_b32 exec_lo, exec_lo, s4
.LBB27_19:
	s_delay_alu instid0(SALU_CYCLE_1)
	s_or_b32 exec_lo, exec_lo, s3
.LBB27_20:
	v_mbcnt_lo_u32_b32 v1, -1, 0
	v_and_b32_e32 v3, 0x3e0, v0
	s_mov_b32 s2, exec_lo
	s_delay_alu instid0(VALU_DEP_2) | instskip(NEXT) | instid1(VALU_DEP_2)
	v_cmp_ne_u32_e32 vcc_lo, 31, v1
	v_sub_nc_u32_e64 v12, s12, v3 clamp
	v_add_nc_u32_e32 v3, 1, v1
	v_add_co_ci_u32_e32 v2, vcc_lo, 0, v1, vcc_lo
	v_cmp_gt_u32_e32 vcc_lo, 30, v1
	s_delay_alu instid0(VALU_DEP_2)
	v_lshlrev_b32_e32 v2, 2, v2
	v_cndmask_b32_e64 v6, 0, 1, vcc_lo
	v_cmp_lt_u32_e32 vcc_lo, v3, v12
	ds_bpermute_b32 v5, v2, v4
	s_waitcnt lgkmcnt(0)
	v_dual_add_f32 v7, v4, v5 :: v_dual_lshlrev_b32 v6, 1, v6
	s_delay_alu instid0(VALU_DEP_1) | instskip(NEXT) | instid1(VALU_DEP_2)
	v_cndmask_b32_e32 v7, v4, v7, vcc_lo
	v_add_lshl_u32 v5, v6, v1, 2
	v_cmp_gt_u32_e32 vcc_lo, 28, v1
	ds_bpermute_b32 v6, v5, v7
	v_cndmask_b32_e64 v4, 0, 1, vcc_lo
	s_delay_alu instid0(VALU_DEP_1) | instskip(SKIP_1) | instid1(VALU_DEP_1)
	v_lshlrev_b32_e32 v8, 2, v4
	v_add_nc_u32_e32 v4, 2, v1
	v_cmp_lt_u32_e32 vcc_lo, v4, v12
	s_waitcnt lgkmcnt(0)
	v_add_f32_e32 v9, v7, v6
	v_add_lshl_u32 v6, v8, v1, 2
	s_delay_alu instid0(VALU_DEP_2) | instskip(SKIP_2) | instid1(VALU_DEP_1)
	v_cndmask_b32_e32 v9, v7, v9, vcc_lo
	v_cmp_gt_u32_e32 vcc_lo, 24, v1
	v_cndmask_b32_e64 v7, 0, 1, vcc_lo
	v_lshlrev_b32_e32 v10, 3, v7
	ds_bpermute_b32 v8, v6, v9
	v_add_nc_u32_e32 v7, 4, v1
	s_delay_alu instid0(VALU_DEP_1) | instskip(SKIP_3) | instid1(VALU_DEP_2)
	v_cmp_lt_u32_e32 vcc_lo, v7, v12
	s_waitcnt lgkmcnt(0)
	v_add_f32_e32 v11, v9, v8
	v_add_lshl_u32 v8, v10, v1, 2
	v_cndmask_b32_e32 v11, v9, v11, vcc_lo
	v_cmp_gt_u32_e32 vcc_lo, 16, v1
	ds_bpermute_b32 v10, v8, v11
	v_cndmask_b32_e64 v9, 0, 1, vcc_lo
	s_delay_alu instid0(VALU_DEP_1) | instskip(SKIP_1) | instid1(VALU_DEP_1)
	v_lshlrev_b32_e32 v13, 4, v9
	v_add_nc_u32_e32 v9, 8, v1
	v_cmp_lt_u32_e32 vcc_lo, v9, v12
	s_waitcnt lgkmcnt(0)
	v_add_f32_e32 v14, v11, v10
	v_add_lshl_u32 v10, v13, v1, 2
	s_delay_alu instid0(VALU_DEP_2)
	v_cndmask_b32_e32 v13, v11, v14, vcc_lo
	v_add_nc_u32_e32 v11, 16, v1
	ds_bpermute_b32 v14, v10, v13
	v_cmp_lt_u32_e32 vcc_lo, v11, v12
	s_waitcnt lgkmcnt(0)
	v_add_f32_e32 v14, v13, v14
	s_delay_alu instid0(VALU_DEP_1)
	v_cndmask_b32_e32 v12, v13, v14, vcc_lo
	v_cmpx_eq_u32_e32 0, v1
	s_cbranch_execz .LBB27_22
; %bb.21:
	v_lshrrev_b32_e32 v13, 3, v0
	s_delay_alu instid0(VALU_DEP_1)
	v_and_b32_e32 v13, 0x7c, v13
	ds_store_b32 v13, v12
.LBB27_22:
	s_or_b32 exec_lo, exec_lo, s2
	s_delay_alu instid0(SALU_CYCLE_1)
	s_mov_b32 s2, exec_lo
	s_waitcnt lgkmcnt(0)
	s_barrier
	buffer_gl0_inv
	v_cmpx_gt_u32_e32 32, v0
	s_cbranch_execz .LBB27_24
; %bb.23:
	v_lshlrev_b32_e32 v1, 2, v1
	s_add_i32 s3, s12, 31
	s_delay_alu instid0(SALU_CYCLE_1) | instskip(NEXT) | instid1(SALU_CYCLE_1)
	s_lshr_b32 s3, s3, 5
	v_cmp_gt_u32_e32 vcc_lo, s3, v3
	ds_load_b32 v1, v1
	s_waitcnt lgkmcnt(0)
	ds_bpermute_b32 v2, v2, v1
	s_waitcnt lgkmcnt(0)
	v_add_f32_e32 v2, v1, v2
	s_delay_alu instid0(VALU_DEP_1) | instskip(SKIP_4) | instid1(VALU_DEP_1)
	v_cndmask_b32_e32 v1, v1, v2, vcc_lo
	v_cmp_gt_u32_e32 vcc_lo, s3, v4
	ds_bpermute_b32 v2, v5, v1
	s_waitcnt lgkmcnt(0)
	v_add_f32_e32 v2, v1, v2
	v_cndmask_b32_e32 v1, v1, v2, vcc_lo
	v_cmp_gt_u32_e32 vcc_lo, s3, v7
	ds_bpermute_b32 v2, v6, v1
	s_waitcnt lgkmcnt(0)
	v_add_f32_e32 v2, v1, v2
	s_delay_alu instid0(VALU_DEP_1) | instskip(SKIP_4) | instid1(VALU_DEP_1)
	v_cndmask_b32_e32 v1, v1, v2, vcc_lo
	v_cmp_gt_u32_e32 vcc_lo, s3, v9
	ds_bpermute_b32 v2, v8, v1
	s_waitcnt lgkmcnt(0)
	v_add_f32_e32 v2, v1, v2
	v_cndmask_b32_e32 v1, v1, v2, vcc_lo
	v_cmp_gt_u32_e32 vcc_lo, s3, v11
	ds_bpermute_b32 v2, v10, v1
	s_waitcnt lgkmcnt(0)
	v_add_f32_e32 v2, v1, v2
	s_delay_alu instid0(VALU_DEP_1)
	v_cndmask_b32_e32 v12, v1, v2, vcc_lo
.LBB27_24:
	s_or_b32 exec_lo, exec_lo, s2
	s_delay_alu instid0(SALU_CYCLE_1)
	s_mov_b32 s2, exec_lo
	v_cmpx_eq_u32_e32 0, v0
	s_cbranch_execz .LBB27_26
; %bb.25:
	v_cvt_f32_i32_e32 v1, s13
	s_load_b32 s3, s[0:1], 0x28
	s_delay_alu instid0(VALU_DEP_1) | instskip(SKIP_1) | instid1(VALU_DEP_2)
	v_div_scale_f32 v2, null, v1, v1, v12
	v_div_scale_f32 v5, vcc_lo, v12, v1, v12
	v_rcp_f32_e32 v3, v2
	s_waitcnt_depctr 0xfff
	v_fma_f32 v4, -v2, v3, 1.0
	s_delay_alu instid0(VALU_DEP_1) | instskip(NEXT) | instid1(VALU_DEP_1)
	v_fmac_f32_e32 v3, v4, v3
	v_mul_f32_e32 v4, v5, v3
	s_delay_alu instid0(VALU_DEP_1) | instskip(NEXT) | instid1(VALU_DEP_1)
	v_fma_f32 v6, -v2, v4, v5
	v_fmac_f32_e32 v4, v6, v3
	s_delay_alu instid0(VALU_DEP_1) | instskip(NEXT) | instid1(VALU_DEP_1)
	v_fma_f32 v2, -v2, v4, v5
	v_div_fmas_f32 v2, v2, v3, v4
	s_delay_alu instid0(VALU_DEP_1) | instskip(SKIP_1) | instid1(VALU_DEP_1)
	v_div_fixup_f32 v1, v2, v1, v12
	s_waitcnt lgkmcnt(0)
	v_add_f32_e32 v1, s3, v1
	s_delay_alu instid0(VALU_DEP_1) | instskip(SKIP_1) | instid1(VALU_DEP_2)
	v_mul_f32_e32 v2, 0x4b800000, v1
	v_cmp_gt_f32_e32 vcc_lo, 0x800000, v1
	v_cndmask_b32_e32 v1, v1, v2, vcc_lo
	s_delay_alu instid0(VALU_DEP_1) | instskip(SKIP_2) | instid1(VALU_DEP_1)
	v_rsq_f32_e32 v1, v1
	s_waitcnt_depctr 0xfff
	v_mul_f32_e32 v2, 0x45800000, v1
	v_dual_cndmask_b32 v1, v1, v2 :: v_dual_mov_b32 v2, 0
	ds_store_b32 v2, v1 offset:128
.LBB27_26:
	s_or_b32 exec_lo, exec_lo, s2
	s_ashr_i32 s2, s13, 31
	s_waitcnt lgkmcnt(0)
	s_lshr_b32 s2, s2, 30
	s_barrier
	s_add_i32 s2, s13, s2
	buffer_gl0_inv
	s_ashr_i32 s8, s2, 2
	s_mov_b32 s2, exec_lo
	v_cmpx_gt_i32_e64 s8, v0
	s_cbranch_execz .LBB27_69
; %bb.27:
	s_clause 0x1
	s_load_b128 s[4:7], s[0:1], 0x18
	s_load_b64 s[2:3], s[0:1], 0x0
	s_mul_i32 s15, s15, s13
	s_lshl_b32 s9, s12, 3
	v_lshl_add_u32 v12, v0, 2, s15
	s_mov_b32 s13, 0x43600000
	s_waitcnt lgkmcnt(0)
	s_load_b32 s7, s[6:7], 0x0
	s_lshl_b32 s6, s12, 2
	s_waitcnt lgkmcnt(0)
	v_div_scale_f32 v1, null, s7, s7, 1.0
	v_div_scale_f32 v4, vcc_lo, 1.0, s7, 1.0
	s_delay_alu instid0(VALU_DEP_2) | instskip(SKIP_2) | instid1(VALU_DEP_1)
	v_rcp_f32_e32 v3, v1
	s_waitcnt_depctr 0xfff
	v_fma_f32 v2, -v1, v3, 1.0
	v_dual_fmac_f32 v3, v2, v3 :: v_dual_mov_b32 v2, 0
	s_delay_alu instid0(VALU_DEP_1) | instskip(SKIP_2) | instid1(VALU_DEP_1)
	v_mul_f32_e32 v5, v4, v3
	ds_load_b32 v11, v2 offset:128
	v_fma_f32 v6, -v1, v5, v4
	v_fmac_f32_e32 v5, v6, v3
	s_delay_alu instid0(VALU_DEP_1) | instskip(NEXT) | instid1(VALU_DEP_1)
	v_fma_f32 v1, -v1, v5, v4
	v_div_fmas_f32 v3, v1, v3, v5
	v_lshlrev_b32_e32 v1, 3, v0
	s_delay_alu instid0(VALU_DEP_2) | instskip(NEXT) | instid1(VALU_DEP_2)
	v_div_fixup_f32 v13, v3, s7, 1.0
	v_dual_mov_b32 v4, v2 :: v_dual_mov_b32 v3, v1
	s_mov_b32 s7, 0
	s_branch .LBB27_32
.LBB27_28:                              ;   in Loop: Header=BB27_32 Depth=1
	s_or_b32 exec_lo, exec_lo, s0
	s_delay_alu instid0(VALU_DEP_2) | instskip(NEXT) | instid1(VALU_DEP_2)
	v_lshrrev_b64 v[5:6], 20, v[5:6]
	v_cmp_gt_i32_e32 vcc_lo, 16, v1
	v_and_b32_e32 v7, 0x80, v7
	v_min_i32_e32 v8, 15, v1
	v_cmp_eq_u32_e64 s0, 0, v1
	v_dual_cndmask_b32 v6, 0, v6 :: v_dual_cndmask_b32 v5, 7, v5
	s_delay_alu instid0(VALU_DEP_3) | instskip(NEXT) | instid1(VALU_DEP_2)
	v_lshl_or_b32 v7, v8, 3, v7
	v_cmp_eq_u64_e32 vcc_lo, 0, v[5:6]
	s_delay_alu instid0(VALU_DEP_2)
	v_and_or_b32 v1, v5, 7, v7
	s_and_b32 s0, s0, vcc_lo
	s_delay_alu instid0(VALU_DEP_1) | instid1(SALU_CYCLE_1)
	v_cndmask_b32_e64 v5, v1, 0, s0
.LBB27_29:                              ;   in Loop: Header=BB27_32 Depth=1
	s_or_b32 exec_lo, exec_lo, s16
.LBB27_30:                              ;   in Loop: Header=BB27_32 Depth=1
	s_and_not1_saveexec_b32 s0, s15
	s_delay_alu instid0(SALU_CYCLE_1)
	s_or_b32 exec_lo, exec_lo, s0
.LBB27_31:                              ;   in Loop: Header=BB27_32 Depth=1
	s_and_not1_saveexec_b32 s0, s14
	s_delay_alu instid0(SALU_CYCLE_1) | instskip(SKIP_4) | instid1(VALU_DEP_4)
	s_or_b32 exec_lo, exec_lo, s0
	v_add_nc_u32_e32 v0, s12, v0
	v_add_co_u32 v3, s0, v3, s9
	v_add_nc_u32_e32 v1, 3, v12
	v_add_nc_u32_e32 v12, s6, v12
	v_cmp_le_i32_e32 vcc_lo, s8, v0
	v_add_co_ci_u32_e64 v4, s0, 0, v4, s0
	global_store_b8 v1, v5, s[2:3]
	s_or_b32 s7, vcc_lo, s7
	s_delay_alu instid0(SALU_CYCLE_1)
	s_and_not1_b32 exec_lo, exec_lo, s7
	s_cbranch_execz .LBB27_69
.LBB27_32:                              ; =>This Inner Loop Header: Depth=1
	s_delay_alu instid0(VALU_DEP_1) | instskip(NEXT) | instid1(VALU_DEP_2)
	v_add_co_u32 v5, vcc_lo, s10, v3
	v_add_co_ci_u32_e32 v6, vcc_lo, s11, v4, vcc_lo
	s_mov_b32 s0, exec_lo
	global_load_b64 v[7:8], v[5:6], off
	v_add_co_u32 v5, vcc_lo, s4, v3
	v_add_co_ci_u32_e32 v6, vcc_lo, s5, v4, vcc_lo
	global_load_b64 v[5:6], v[5:6], off
	s_waitcnt vmcnt(1)
	v_lshlrev_b32_e32 v1, 16, v7
	s_waitcnt lgkmcnt(0)
	s_delay_alu instid0(VALU_DEP_1) | instskip(NEXT) | instid1(VALU_DEP_1)
	v_mul_f32_e32 v1, v11, v1
	v_bfe_u32 v9, v1, 16, 1
	v_cmp_o_f32_e32 vcc_lo, v1, v1
	s_delay_alu instid0(VALU_DEP_2) | instskip(NEXT) | instid1(VALU_DEP_1)
	v_add3_u32 v9, v1, v9, 0x7fff
	v_and_b32_e32 v9, 0xffff0000, v9
	s_delay_alu instid0(VALU_DEP_1) | instskip(SKIP_2) | instid1(VALU_DEP_1)
	v_cndmask_b32_e32 v1, 0x7fc00000, v9, vcc_lo
	s_waitcnt vmcnt(0)
	v_lshlrev_b32_e32 v9, 16, v5
	v_mul_f32_e32 v1, v1, v9
	s_delay_alu instid0(VALU_DEP_1) | instskip(SKIP_1) | instid1(VALU_DEP_2)
	v_bfe_u32 v9, v1, 16, 1
	v_cmp_o_f32_e32 vcc_lo, v1, v1
	v_add3_u32 v9, v1, v9, 0x7fff
	s_delay_alu instid0(VALU_DEP_1) | instskip(NEXT) | instid1(VALU_DEP_1)
	v_and_b32_e32 v9, 0xffff0000, v9
	v_cndmask_b32_e32 v1, 0x7fc00000, v9, vcc_lo
	s_delay_alu instid0(VALU_DEP_1) | instskip(NEXT) | instid1(VALU_DEP_1)
	v_mul_f32_e32 v1, v13, v1
	v_minmax_f32 v9, v1, s13, 0xc3600000
	s_delay_alu instid0(VALU_DEP_1) | instskip(SKIP_1) | instid1(VALU_DEP_2)
	v_lshrrev_b32_e32 v14, 24, v9
	v_and_b32_e32 v1, 0x7f800000, v9
	v_or_b32_e32 v10, 0x7f, v14
	s_delay_alu instid0(VALU_DEP_2)
	v_cmpx_ne_u64_e32 0x7f800000, v[1:2]
	s_xor_b32 s14, exec_lo, s0
	s_cbranch_execz .LBB27_42
; %bb.33:                               ;   in Loop: Header=BB27_32 Depth=1
	v_and_b32_e32 v1, 0x7fffffff, v9
	s_mov_b32 s0, exec_lo
	s_delay_alu instid0(VALU_DEP_1)
	v_cmpx_gt_u64_e32 0x43700001, v[1:2]
	s_xor_b32 s15, exec_lo, s0
	s_cbranch_execz .LBB27_41
; %bb.34:                               ;   in Loop: Header=BB27_32 Depth=1
	v_mov_b32_e32 v10, 0
	s_mov_b32 s16, exec_lo
	v_cmpx_ne_u32_e32 0, v9
	s_cbranch_execz .LBB27_40
; %bb.35:                               ;   in Loop: Header=BB27_32 Depth=1
	v_bfe_u32 v19, v9, 23, 8
	v_and_b32_e32 v9, 0x7fffff, v9
	s_delay_alu instid0(VALU_DEP_2) | instskip(SKIP_2) | instid1(VALU_DEP_3)
	v_sub_nc_u32_e64 v1, 0x78, v19 clamp
	v_cmp_eq_u32_e32 vcc_lo, 0, v19
	v_add_nc_u32_e32 v19, 0xffffff89, v19
	v_cndmask_b32_e64 v20, v1, 0x77, vcc_lo
	v_or_b32_e32 v1, 0x800000, v9
	s_delay_alu instid0(VALU_DEP_1) | instskip(SKIP_1) | instid1(VALU_DEP_2)
	v_dual_cndmask_b32 v1, v1, v9 :: v_dual_add_nc_u32 v10, 20, v20
	v_add_nc_u32_e32 v15, 19, v20
	v_lshlrev_b64 v[9:10], v10, -1
	s_delay_alu instid0(VALU_DEP_3) | instskip(NEXT) | instid1(VALU_DEP_3)
	v_lshrrev_b64 v[17:18], v20, v[1:2]
	v_lshlrev_b64 v[15:16], v15, 1
	v_mov_b32_e32 v10, v2
	s_delay_alu instid0(VALU_DEP_4) | instskip(NEXT) | instid1(VALU_DEP_1)
	v_not_b32_e32 v9, v9
	v_and_b32_e32 v9, v1, v9
	v_and_b32_e32 v1, 0x100000, v17
	s_delay_alu instid0(VALU_DEP_2) | instskip(NEXT) | instid1(VALU_DEP_2)
	v_cmp_eq_u64_e64 s0, v[9:10], v[15:16]
	v_cmp_eq_u64_e64 s1, 0, v[1:2]
	v_cndmask_b32_e64 v1, v19, 0xffffff8a, vcc_lo
	v_lshrrev_b32_e32 v9, 23, v17
	s_delay_alu instid0(VALU_DEP_3) | instskip(NEXT) | instid1(VALU_DEP_1)
	s_and_b32 vcc_lo, s1, s0
	v_add3_u32 v15, v1, v20, v9
	v_subrev_co_ci_u32_e32 v10, vcc_lo, 0, v17, vcc_lo
	s_mov_b32 s0, exec_lo
	s_delay_alu instid0(VALU_DEP_2) | instskip(NEXT) | instid1(VALU_DEP_2)
	v_add_nc_u32_e32 v16, -1, v15
	v_and_b32_e32 v1, 0xfffff, v10
	s_delay_alu instid0(VALU_DEP_1) | instskip(SKIP_1) | instid1(VALU_DEP_4)
	v_add_co_u32 v9, vcc_lo, v1, v17
	v_add_co_ci_u32_e32 v10, vcc_lo, 0, v18, vcc_lo
                                        ; implicit-def: $vgpr1
	v_cmpx_ne_u32_e32 0, v16
	s_xor_b32 s0, exec_lo, s0
; %bb.36:                               ;   in Loop: Header=BB27_32 Depth=1
	s_delay_alu instid0(VALU_DEP_3) | instskip(SKIP_1) | instid1(VALU_DEP_2)
	v_and_b32_e32 v1, 0x1000000, v9
	v_bfe_u32 v17, v9, 24, 1
	v_cmp_eq_u64_e32 vcc_lo, 0, v[1:2]
	s_delay_alu instid0(VALU_DEP_2)
	v_lshrrev_b64 v[9:10], v17, v[9:10]
	v_cndmask_b32_e32 v1, v15, v16, vcc_lo
; %bb.37:                               ;   in Loop: Header=BB27_32 Depth=1
	s_and_not1_saveexec_b32 s0, s0
; %bb.38:                               ;   in Loop: Header=BB27_32 Depth=1
	s_delay_alu instid0(VALU_DEP_2)
	v_bfe_u32 v1, v9, 23, 1
; %bb.39:                               ;   in Loop: Header=BB27_32 Depth=1
	s_or_b32 exec_lo, exec_lo, s0
	s_delay_alu instid0(VALU_DEP_3) | instskip(NEXT) | instid1(VALU_DEP_2)
	v_lshrrev_b64 v[9:10], 20, v[9:10]
	v_cmp_gt_i32_e32 vcc_lo, 16, v1
	v_and_b32_e32 v14, 0x80, v14
	v_min_i32_e32 v15, 15, v1
	v_cmp_eq_u32_e64 s0, 0, v1
	v_dual_cndmask_b32 v9, 7, v9 :: v_dual_cndmask_b32 v10, 0, v10
	s_delay_alu instid0(VALU_DEP_3) | instskip(NEXT) | instid1(VALU_DEP_2)
	v_lshl_or_b32 v14, v15, 3, v14
	v_cmp_eq_u64_e32 vcc_lo, 0, v[9:10]
	s_delay_alu instid0(VALU_DEP_2)
	v_and_or_b32 v1, v9, 7, v14
	s_and_b32 s0, s0, vcc_lo
	s_delay_alu instid0(VALU_DEP_1) | instid1(SALU_CYCLE_1)
	v_cndmask_b32_e64 v10, v1, 0, s0
.LBB27_40:                              ;   in Loop: Header=BB27_32 Depth=1
	s_or_b32 exec_lo, exec_lo, s16
.LBB27_41:                              ;   in Loop: Header=BB27_32 Depth=1
	s_and_not1_saveexec_b32 s0, s15
	s_delay_alu instid0(SALU_CYCLE_1)
	s_or_b32 exec_lo, exec_lo, s0
.LBB27_42:                              ;   in Loop: Header=BB27_32 Depth=1
	s_and_not1_saveexec_b32 s0, s14
	s_delay_alu instid0(SALU_CYCLE_1)
	s_or_b32 exec_lo, exec_lo, s0
	v_and_b32_e32 v1, 0xffff0000, v7
	v_and_b32_e32 v14, 0xffff0000, v5
	global_store_b8 v12, v10, s[2:3]
	s_mov_b32 s0, exec_lo
	v_mul_f32_e32 v1, v11, v1
	s_delay_alu instid0(VALU_DEP_1) | instskip(SKIP_1) | instid1(VALU_DEP_2)
	v_bfe_u32 v9, v1, 16, 1
	v_cmp_o_f32_e32 vcc_lo, v1, v1
	v_add3_u32 v9, v1, v9, 0x7fff
	s_delay_alu instid0(VALU_DEP_1) | instskip(NEXT) | instid1(VALU_DEP_1)
	v_and_b32_e32 v9, 0xffff0000, v9
	v_cndmask_b32_e32 v1, 0x7fc00000, v9, vcc_lo
	s_delay_alu instid0(VALU_DEP_1) | instskip(NEXT) | instid1(VALU_DEP_1)
	v_mul_f32_e32 v1, v1, v14
	v_bfe_u32 v9, v1, 16, 1
	v_cmp_o_f32_e32 vcc_lo, v1, v1
	s_delay_alu instid0(VALU_DEP_2) | instskip(NEXT) | instid1(VALU_DEP_1)
	v_add3_u32 v9, v1, v9, 0x7fff
	v_and_b32_e32 v9, 0xffff0000, v9
	s_delay_alu instid0(VALU_DEP_1) | instskip(NEXT) | instid1(VALU_DEP_1)
	v_cndmask_b32_e32 v1, 0x7fc00000, v9, vcc_lo
	v_mul_f32_e32 v1, v13, v1
	s_delay_alu instid0(VALU_DEP_1) | instskip(NEXT) | instid1(VALU_DEP_1)
	v_minmax_f32 v15, v1, s13, 0xc3600000
	v_lshrrev_b32_e32 v14, 24, v15
	v_and_b32_e32 v1, 0x7f800000, v15
	s_delay_alu instid0(VALU_DEP_2) | instskip(NEXT) | instid1(VALU_DEP_2)
	v_or_b32_e32 v9, 0x7f, v14
	v_cmpx_ne_u64_e32 0x7f800000, v[1:2]
	s_xor_b32 s14, exec_lo, s0
	s_cbranch_execz .LBB27_52
; %bb.43:                               ;   in Loop: Header=BB27_32 Depth=1
	v_and_b32_e32 v1, 0x7fffffff, v15
	s_mov_b32 s0, exec_lo
	s_delay_alu instid0(VALU_DEP_1)
	v_cmpx_gt_u64_e32 0x43700001, v[1:2]
	s_xor_b32 s15, exec_lo, s0
	s_cbranch_execz .LBB27_51
; %bb.44:                               ;   in Loop: Header=BB27_32 Depth=1
	v_mov_b32_e32 v9, 0
	s_mov_b32 s16, exec_lo
	v_cmpx_ne_u32_e32 0, v15
	s_cbranch_execz .LBB27_50
; %bb.45:                               ;   in Loop: Header=BB27_32 Depth=1
	v_bfe_u32 v19, v15, 23, 8
	v_and_b32_e32 v9, 0x7fffff, v15
	s_delay_alu instid0(VALU_DEP_2) | instskip(SKIP_2) | instid1(VALU_DEP_3)
	v_sub_nc_u32_e64 v1, 0x78, v19 clamp
	v_cmp_eq_u32_e32 vcc_lo, 0, v19
	v_add_nc_u32_e32 v19, 0xffffff89, v19
	v_cndmask_b32_e64 v20, v1, 0x77, vcc_lo
	v_or_b32_e32 v1, 0x800000, v9
	s_delay_alu instid0(VALU_DEP_1) | instskip(SKIP_1) | instid1(VALU_DEP_2)
	v_dual_cndmask_b32 v1, v1, v9 :: v_dual_add_nc_u32 v10, 20, v20
	v_add_nc_u32_e32 v15, 19, v20
	v_lshlrev_b64 v[9:10], v10, -1
	s_delay_alu instid0(VALU_DEP_3) | instskip(NEXT) | instid1(VALU_DEP_3)
	v_lshrrev_b64 v[17:18], v20, v[1:2]
	v_lshlrev_b64 v[15:16], v15, 1
	v_mov_b32_e32 v10, v2
	s_delay_alu instid0(VALU_DEP_4) | instskip(NEXT) | instid1(VALU_DEP_1)
	v_not_b32_e32 v9, v9
	v_and_b32_e32 v9, v1, v9
	v_and_b32_e32 v1, 0x100000, v17
	s_delay_alu instid0(VALU_DEP_2) | instskip(NEXT) | instid1(VALU_DEP_2)
	v_cmp_eq_u64_e64 s0, v[9:10], v[15:16]
	v_cmp_eq_u64_e64 s1, 0, v[1:2]
	v_cndmask_b32_e64 v1, v19, 0xffffff8a, vcc_lo
	v_lshrrev_b32_e32 v9, 23, v17
	s_delay_alu instid0(VALU_DEP_3) | instskip(NEXT) | instid1(VALU_DEP_1)
	s_and_b32 vcc_lo, s1, s0
	v_add3_u32 v15, v1, v20, v9
	v_subrev_co_ci_u32_e32 v10, vcc_lo, 0, v17, vcc_lo
	s_mov_b32 s0, exec_lo
	s_delay_alu instid0(VALU_DEP_2) | instskip(NEXT) | instid1(VALU_DEP_2)
	v_add_nc_u32_e32 v16, -1, v15
	v_and_b32_e32 v1, 0xfffff, v10
	s_delay_alu instid0(VALU_DEP_1) | instskip(SKIP_1) | instid1(VALU_DEP_4)
	v_add_co_u32 v9, vcc_lo, v1, v17
	v_add_co_ci_u32_e32 v10, vcc_lo, 0, v18, vcc_lo
                                        ; implicit-def: $vgpr1
	v_cmpx_ne_u32_e32 0, v16
	s_xor_b32 s0, exec_lo, s0
; %bb.46:                               ;   in Loop: Header=BB27_32 Depth=1
	s_delay_alu instid0(VALU_DEP_3) | instskip(SKIP_1) | instid1(VALU_DEP_2)
	v_and_b32_e32 v1, 0x1000000, v9
	v_bfe_u32 v17, v9, 24, 1
	v_cmp_eq_u64_e32 vcc_lo, 0, v[1:2]
	s_delay_alu instid0(VALU_DEP_2)
	v_lshrrev_b64 v[9:10], v17, v[9:10]
	v_cndmask_b32_e32 v1, v15, v16, vcc_lo
; %bb.47:                               ;   in Loop: Header=BB27_32 Depth=1
	s_and_not1_saveexec_b32 s0, s0
; %bb.48:                               ;   in Loop: Header=BB27_32 Depth=1
	s_delay_alu instid0(VALU_DEP_2)
	v_bfe_u32 v1, v9, 23, 1
; %bb.49:                               ;   in Loop: Header=BB27_32 Depth=1
	s_or_b32 exec_lo, exec_lo, s0
	s_delay_alu instid0(VALU_DEP_3) | instskip(NEXT) | instid1(VALU_DEP_2)
	v_lshrrev_b64 v[9:10], 20, v[9:10]
	v_cmp_gt_i32_e32 vcc_lo, 16, v1
	v_and_b32_e32 v14, 0x80, v14
	v_min_i32_e32 v15, 15, v1
	v_cmp_eq_u32_e64 s0, 0, v1
	v_dual_cndmask_b32 v9, 7, v9 :: v_dual_cndmask_b32 v10, 0, v10
	s_delay_alu instid0(VALU_DEP_3) | instskip(NEXT) | instid1(VALU_DEP_2)
	v_lshl_or_b32 v14, v15, 3, v14
	v_cmp_eq_u64_e32 vcc_lo, 0, v[9:10]
	s_delay_alu instid0(VALU_DEP_2)
	v_and_or_b32 v1, v9, 7, v14
	s_and_b32 s0, s0, vcc_lo
	s_delay_alu instid0(VALU_DEP_1) | instid1(SALU_CYCLE_1)
	v_cndmask_b32_e64 v9, v1, 0, s0
.LBB27_50:                              ;   in Loop: Header=BB27_32 Depth=1
	s_or_b32 exec_lo, exec_lo, s16
.LBB27_51:                              ;   in Loop: Header=BB27_32 Depth=1
	s_and_not1_saveexec_b32 s0, s15
	s_delay_alu instid0(SALU_CYCLE_1)
	s_or_b32 exec_lo, exec_lo, s0
.LBB27_52:                              ;   in Loop: Header=BB27_32 Depth=1
	s_and_not1_saveexec_b32 s0, s14
	s_delay_alu instid0(SALU_CYCLE_1) | instskip(SKIP_4) | instid1(VALU_DEP_3)
	s_or_b32 exec_lo, exec_lo, s0
	v_alignbit_b32 v1, v8, v7, 16
	v_alignbit_b32 v5, v6, v5, 16
	s_mov_b32 s0, exec_lo
	v_add_nc_u32_e32 v14, 1, v12
	v_and_b32_e32 v1, 0xffff0000, v1
	s_delay_alu instid0(VALU_DEP_3) | instskip(SKIP_2) | instid1(VALU_DEP_1)
	v_and_b32_e32 v5, 0xffff0000, v5
	global_store_b8 v14, v9, s[2:3]
	v_mul_f32_e32 v1, v11, v1
	v_bfe_u32 v7, v1, 16, 1
	v_cmp_o_f32_e32 vcc_lo, v1, v1
	s_delay_alu instid0(VALU_DEP_2) | instskip(NEXT) | instid1(VALU_DEP_1)
	v_add3_u32 v7, v1, v7, 0x7fff
	v_and_b32_e32 v7, 0xffff0000, v7
	s_delay_alu instid0(VALU_DEP_1) | instskip(NEXT) | instid1(VALU_DEP_1)
	v_cndmask_b32_e32 v1, 0x7fc00000, v7, vcc_lo
	v_mul_f32_e32 v1, v1, v5
	s_delay_alu instid0(VALU_DEP_1) | instskip(SKIP_1) | instid1(VALU_DEP_2)
	v_bfe_u32 v5, v1, 16, 1
	v_cmp_o_f32_e32 vcc_lo, v1, v1
	v_add3_u32 v5, v1, v5, 0x7fff
	s_delay_alu instid0(VALU_DEP_1) | instskip(NEXT) | instid1(VALU_DEP_1)
	v_and_b32_e32 v5, 0xffff0000, v5
	v_cndmask_b32_e32 v1, 0x7fc00000, v5, vcc_lo
	s_delay_alu instid0(VALU_DEP_1) | instskip(NEXT) | instid1(VALU_DEP_1)
	v_mul_f32_e32 v1, v13, v1
	v_minmax_f32 v7, v1, s13, 0xc3600000
	s_delay_alu instid0(VALU_DEP_1) | instskip(SKIP_1) | instid1(VALU_DEP_2)
	v_lshrrev_b32_e32 v5, 24, v7
	v_and_b32_e32 v1, 0x7f800000, v7
	v_or_b32_e32 v10, 0x7f, v5
	s_delay_alu instid0(VALU_DEP_2)
	v_cmpx_ne_u64_e32 0x7f800000, v[1:2]
	s_xor_b32 s14, exec_lo, s0
	s_cbranch_execz .LBB27_62
; %bb.53:                               ;   in Loop: Header=BB27_32 Depth=1
	v_and_b32_e32 v1, 0x7fffffff, v7
	s_mov_b32 s0, exec_lo
	s_delay_alu instid0(VALU_DEP_1)
	v_cmpx_gt_u64_e32 0x43700001, v[1:2]
	s_xor_b32 s15, exec_lo, s0
	s_cbranch_execz .LBB27_61
; %bb.54:                               ;   in Loop: Header=BB27_32 Depth=1
	v_mov_b32_e32 v10, 0
	s_mov_b32 s16, exec_lo
	v_cmpx_ne_u32_e32 0, v7
	s_cbranch_execz .LBB27_60
; %bb.55:                               ;   in Loop: Header=BB27_32 Depth=1
	v_bfe_u32 v14, v7, 23, 8
	v_and_b32_e32 v7, 0x7fffff, v7
	s_delay_alu instid0(VALU_DEP_2) | instskip(SKIP_1) | instid1(VALU_DEP_2)
	v_sub_nc_u32_e64 v1, 0x78, v14 clamp
	v_cmp_eq_u32_e32 vcc_lo, 0, v14
	v_cndmask_b32_e64 v19, v1, 0x77, vcc_lo
	s_delay_alu instid0(VALU_DEP_1) | instskip(NEXT) | instid1(VALU_DEP_1)
	v_add_nc_u32_e32 v9, 20, v19
	v_lshlrev_b64 v[9:10], v9, -1
	v_mov_b32_e32 v10, v2
	v_or_b32_e32 v1, 0x800000, v7
	s_delay_alu instid0(VALU_DEP_3) | instskip(NEXT) | instid1(VALU_DEP_2)
	v_not_b32_e32 v9, v9
	v_cndmask_b32_e32 v1, v1, v7, vcc_lo
	v_add_nc_u32_e32 v7, 19, v19
	s_delay_alu instid0(VALU_DEP_2) | instskip(NEXT) | instid1(VALU_DEP_2)
	v_lshrrev_b64 v[15:16], v19, v[1:2]
	v_lshlrev_b64 v[17:18], v7, 1
	v_and_b32_e32 v9, v1, v9
	v_add_nc_u32_e32 v7, 0xffffff89, v14
	s_delay_alu instid0(VALU_DEP_4) | instskip(NEXT) | instid1(VALU_DEP_3)
	v_and_b32_e32 v1, 0x100000, v15
	v_cmp_eq_u64_e64 s0, v[9:10], v[17:18]
	s_delay_alu instid0(VALU_DEP_2) | instskip(NEXT) | instid1(VALU_DEP_4)
	v_cmp_eq_u64_e64 s1, 0, v[1:2]
	v_cndmask_b32_e64 v1, v7, 0xffffff8a, vcc_lo
	v_lshrrev_b32_e32 v7, 23, v15
	s_delay_alu instid0(VALU_DEP_3) | instskip(NEXT) | instid1(VALU_DEP_1)
	s_and_b32 vcc_lo, s1, s0
	v_add3_u32 v7, v1, v19, v7
	v_subrev_co_ci_u32_e32 v9, vcc_lo, 0, v15, vcc_lo
	s_mov_b32 s0, exec_lo
	s_delay_alu instid0(VALU_DEP_2) | instskip(NEXT) | instid1(VALU_DEP_2)
	v_add_nc_u32_e32 v14, -1, v7
	v_and_b32_e32 v1, 0xfffff, v9
	s_delay_alu instid0(VALU_DEP_1) | instskip(SKIP_1) | instid1(VALU_DEP_4)
	v_add_co_u32 v9, vcc_lo, v1, v15
	v_add_co_ci_u32_e32 v10, vcc_lo, 0, v16, vcc_lo
                                        ; implicit-def: $vgpr1
	v_cmpx_ne_u32_e32 0, v14
	s_xor_b32 s0, exec_lo, s0
; %bb.56:                               ;   in Loop: Header=BB27_32 Depth=1
	s_delay_alu instid0(VALU_DEP_3) | instskip(SKIP_1) | instid1(VALU_DEP_2)
	v_and_b32_e32 v1, 0x1000000, v9
	v_bfe_u32 v15, v9, 24, 1
	v_cmp_eq_u64_e32 vcc_lo, 0, v[1:2]
	s_delay_alu instid0(VALU_DEP_2)
	v_lshrrev_b64 v[9:10], v15, v[9:10]
	v_cndmask_b32_e32 v1, v7, v14, vcc_lo
; %bb.57:                               ;   in Loop: Header=BB27_32 Depth=1
	s_and_not1_saveexec_b32 s0, s0
; %bb.58:                               ;   in Loop: Header=BB27_32 Depth=1
	s_delay_alu instid0(VALU_DEP_2)
	v_bfe_u32 v1, v9, 23, 1
; %bb.59:                               ;   in Loop: Header=BB27_32 Depth=1
	s_or_b32 exec_lo, exec_lo, s0
	s_delay_alu instid0(VALU_DEP_3) | instskip(NEXT) | instid1(VALU_DEP_2)
	v_lshrrev_b64 v[9:10], 20, v[9:10]
	v_cmp_gt_i32_e32 vcc_lo, 16, v1
	v_and_b32_e32 v5, 0x80, v5
	v_min_i32_e32 v7, 15, v1
	v_cmp_eq_u32_e64 s0, 0, v1
	v_dual_cndmask_b32 v10, 0, v10 :: v_dual_cndmask_b32 v9, 7, v9
	s_delay_alu instid0(VALU_DEP_3) | instskip(NEXT) | instid1(VALU_DEP_2)
	v_lshl_or_b32 v5, v7, 3, v5
	v_cmp_eq_u64_e32 vcc_lo, 0, v[9:10]
	s_delay_alu instid0(VALU_DEP_2)
	v_and_or_b32 v1, v9, 7, v5
	s_and_b32 s0, s0, vcc_lo
	s_delay_alu instid0(VALU_DEP_1) | instid1(SALU_CYCLE_1)
	v_cndmask_b32_e64 v10, v1, 0, s0
.LBB27_60:                              ;   in Loop: Header=BB27_32 Depth=1
	s_or_b32 exec_lo, exec_lo, s16
.LBB27_61:                              ;   in Loop: Header=BB27_32 Depth=1
	s_and_not1_saveexec_b32 s0, s15
	s_delay_alu instid0(SALU_CYCLE_1)
	s_or_b32 exec_lo, exec_lo, s0
.LBB27_62:                              ;   in Loop: Header=BB27_32 Depth=1
	s_and_not1_saveexec_b32 s0, s14
	s_delay_alu instid0(SALU_CYCLE_1) | instskip(SKIP_2) | instid1(VALU_DEP_1)
	s_or_b32 exec_lo, exec_lo, s0
	v_and_b32_e32 v1, 0xffff0000, v8
	s_mov_b32 s0, exec_lo
	v_dual_mul_f32 v1, v11, v1 :: v_dual_add_nc_u32 v8, 2, v12
	global_store_b8 v8, v10, s[2:3]
	v_bfe_u32 v5, v1, 16, 1
	v_cmp_o_f32_e32 vcc_lo, v1, v1
	s_delay_alu instid0(VALU_DEP_2) | instskip(NEXT) | instid1(VALU_DEP_1)
	v_add3_u32 v5, v1, v5, 0x7fff
	v_and_b32_e32 v5, 0xffff0000, v5
	s_delay_alu instid0(VALU_DEP_1) | instskip(SKIP_1) | instid1(VALU_DEP_1)
	v_cndmask_b32_e32 v1, 0x7fc00000, v5, vcc_lo
	v_and_b32_e32 v5, 0xffff0000, v6
	v_mul_f32_e32 v1, v1, v5
	s_delay_alu instid0(VALU_DEP_1) | instskip(SKIP_1) | instid1(VALU_DEP_2)
	v_bfe_u32 v5, v1, 16, 1
	v_cmp_o_f32_e32 vcc_lo, v1, v1
	v_add3_u32 v5, v1, v5, 0x7fff
	s_delay_alu instid0(VALU_DEP_1) | instskip(NEXT) | instid1(VALU_DEP_1)
	v_and_b32_e32 v5, 0xffff0000, v5
	v_cndmask_b32_e32 v1, 0x7fc00000, v5, vcc_lo
	s_delay_alu instid0(VALU_DEP_1) | instskip(NEXT) | instid1(VALU_DEP_1)
	v_mul_f32_e32 v1, v13, v1
	v_minmax_f32 v6, v1, s13, 0xc3600000
	s_delay_alu instid0(VALU_DEP_1) | instskip(SKIP_1) | instid1(VALU_DEP_2)
	v_lshrrev_b32_e32 v7, 24, v6
	v_and_b32_e32 v1, 0x7f800000, v6
	v_or_b32_e32 v5, 0x7f, v7
	s_delay_alu instid0(VALU_DEP_2)
	v_cmpx_ne_u64_e32 0x7f800000, v[1:2]
	s_xor_b32 s14, exec_lo, s0
	s_cbranch_execz .LBB27_31
; %bb.63:                               ;   in Loop: Header=BB27_32 Depth=1
	v_and_b32_e32 v1, 0x7fffffff, v6
	s_mov_b32 s0, exec_lo
	s_delay_alu instid0(VALU_DEP_1)
	v_cmpx_gt_u64_e32 0x43700001, v[1:2]
	s_xor_b32 s15, exec_lo, s0
	s_cbranch_execz .LBB27_30
; %bb.64:                               ;   in Loop: Header=BB27_32 Depth=1
	v_mov_b32_e32 v5, 0
	s_mov_b32 s16, exec_lo
	v_cmpx_ne_u32_e32 0, v6
	s_cbranch_execz .LBB27_29
; %bb.65:                               ;   in Loop: Header=BB27_32 Depth=1
	v_bfe_u32 v10, v6, 23, 8
	v_and_b32_e32 v5, 0x7fffff, v6
	s_delay_alu instid0(VALU_DEP_2) | instskip(SKIP_2) | instid1(VALU_DEP_3)
	v_sub_nc_u32_e64 v1, 0x78, v10 clamp
	v_cmp_eq_u32_e32 vcc_lo, 0, v10
	v_add_nc_u32_e32 v10, 0xffffff89, v10
	v_cndmask_b32_e64 v16, v1, 0x77, vcc_lo
	v_or_b32_e32 v1, 0x800000, v5
	s_delay_alu instid0(VALU_DEP_1) | instskip(SKIP_1) | instid1(VALU_DEP_2)
	v_dual_cndmask_b32 v1, v1, v5 :: v_dual_add_nc_u32 v6, 20, v16
	v_add_nc_u32_e32 v8, 19, v16
	v_lshlrev_b64 v[5:6], v6, -1
	s_delay_alu instid0(VALU_DEP_3) | instskip(NEXT) | instid1(VALU_DEP_3)
	v_lshrrev_b64 v[14:15], v16, v[1:2]
	v_lshlrev_b64 v[8:9], v8, 1
	v_mov_b32_e32 v6, v2
	s_delay_alu instid0(VALU_DEP_4) | instskip(NEXT) | instid1(VALU_DEP_1)
	v_not_b32_e32 v5, v5
	v_and_b32_e32 v5, v1, v5
	v_and_b32_e32 v1, 0x100000, v14
	s_delay_alu instid0(VALU_DEP_2) | instskip(NEXT) | instid1(VALU_DEP_2)
	v_cmp_eq_u64_e64 s0, v[5:6], v[8:9]
	v_cmp_eq_u64_e64 s1, 0, v[1:2]
	v_cndmask_b32_e64 v1, v10, 0xffffff8a, vcc_lo
	v_lshrrev_b32_e32 v5, 23, v14
	s_delay_alu instid0(VALU_DEP_3) | instskip(NEXT) | instid1(VALU_DEP_1)
	s_and_b32 vcc_lo, s1, s0
	v_add3_u32 v8, v1, v16, v5
	v_subrev_co_ci_u32_e32 v6, vcc_lo, 0, v14, vcc_lo
	s_mov_b32 s0, exec_lo
	s_delay_alu instid0(VALU_DEP_2) | instskip(NEXT) | instid1(VALU_DEP_2)
	v_add_nc_u32_e32 v9, -1, v8
	v_and_b32_e32 v1, 0xfffff, v6
	s_delay_alu instid0(VALU_DEP_1) | instskip(SKIP_1) | instid1(VALU_DEP_4)
	v_add_co_u32 v5, vcc_lo, v1, v14
	v_add_co_ci_u32_e32 v6, vcc_lo, 0, v15, vcc_lo
                                        ; implicit-def: $vgpr1
	v_cmpx_ne_u32_e32 0, v9
	s_xor_b32 s0, exec_lo, s0
; %bb.66:                               ;   in Loop: Header=BB27_32 Depth=1
	s_delay_alu instid0(VALU_DEP_3) | instskip(SKIP_1) | instid1(VALU_DEP_2)
	v_and_b32_e32 v1, 0x1000000, v5
	v_bfe_u32 v10, v5, 24, 1
	v_cmp_eq_u64_e32 vcc_lo, 0, v[1:2]
	s_delay_alu instid0(VALU_DEP_2)
	v_lshrrev_b64 v[5:6], v10, v[5:6]
	v_cndmask_b32_e32 v1, v8, v9, vcc_lo
; %bb.67:                               ;   in Loop: Header=BB27_32 Depth=1
	s_and_not1_saveexec_b32 s0, s0
	s_cbranch_execz .LBB27_28
; %bb.68:                               ;   in Loop: Header=BB27_32 Depth=1
	s_delay_alu instid0(VALU_DEP_2)
	v_bfe_u32 v1, v5, 23, 1
	s_branch .LBB27_28
.LBB27_69:
	s_nop 0
	s_sendmsg sendmsg(MSG_DEALLOC_VGPRS)
	s_endpgm
	.section	.rodata,"a",@progbits
	.p2align	6, 0x0
	.amdhsa_kernel _ZN4vllm32rms_norm_static_fp8_quant_kernelIN3c108BFloat16ENS1_15Float8_e4m3fnuzELi4EEEvPT0_PKT_iS8_PKffii
		.amdhsa_group_segment_fixed_size 132
		.amdhsa_private_segment_fixed_size 0
		.amdhsa_kernarg_size 312
		.amdhsa_user_sgpr_count 15
		.amdhsa_user_sgpr_dispatch_ptr 0
		.amdhsa_user_sgpr_queue_ptr 0
		.amdhsa_user_sgpr_kernarg_segment_ptr 1
		.amdhsa_user_sgpr_dispatch_id 0
		.amdhsa_user_sgpr_private_segment_size 0
		.amdhsa_wavefront_size32 1
		.amdhsa_uses_dynamic_stack 0
		.amdhsa_enable_private_segment 0
		.amdhsa_system_sgpr_workgroup_id_x 1
		.amdhsa_system_sgpr_workgroup_id_y 0
		.amdhsa_system_sgpr_workgroup_id_z 0
		.amdhsa_system_sgpr_workgroup_info 0
		.amdhsa_system_vgpr_workitem_id 0
		.amdhsa_next_free_vgpr 21
		.amdhsa_next_free_sgpr 20
		.amdhsa_reserve_vcc 1
		.amdhsa_float_round_mode_32 0
		.amdhsa_float_round_mode_16_64 0
		.amdhsa_float_denorm_mode_32 3
		.amdhsa_float_denorm_mode_16_64 3
		.amdhsa_dx10_clamp 1
		.amdhsa_ieee_mode 1
		.amdhsa_fp16_overflow 0
		.amdhsa_workgroup_processor_mode 1
		.amdhsa_memory_ordered 1
		.amdhsa_forward_progress 0
		.amdhsa_shared_vgpr_count 0
		.amdhsa_exception_fp_ieee_invalid_op 0
		.amdhsa_exception_fp_denorm_src 0
		.amdhsa_exception_fp_ieee_div_zero 0
		.amdhsa_exception_fp_ieee_overflow 0
		.amdhsa_exception_fp_ieee_underflow 0
		.amdhsa_exception_fp_ieee_inexact 0
		.amdhsa_exception_int_div_zero 0
	.end_amdhsa_kernel
	.section	.text._ZN4vllm32rms_norm_static_fp8_quant_kernelIN3c108BFloat16ENS1_15Float8_e4m3fnuzELi4EEEvPT0_PKT_iS8_PKffii,"axG",@progbits,_ZN4vllm32rms_norm_static_fp8_quant_kernelIN3c108BFloat16ENS1_15Float8_e4m3fnuzELi4EEEvPT0_PKT_iS8_PKffii,comdat
.Lfunc_end27:
	.size	_ZN4vllm32rms_norm_static_fp8_quant_kernelIN3c108BFloat16ENS1_15Float8_e4m3fnuzELi4EEEvPT0_PKT_iS8_PKffii, .Lfunc_end27-_ZN4vllm32rms_norm_static_fp8_quant_kernelIN3c108BFloat16ENS1_15Float8_e4m3fnuzELi4EEEvPT0_PKT_iS8_PKffii
                                        ; -- End function
	.section	.AMDGPU.csdata,"",@progbits
; Kernel info:
; codeLenInByte = 4616
; NumSgprs: 22
; NumVgprs: 21
; ScratchSize: 0
; MemoryBound: 0
; FloatMode: 240
; IeeeMode: 1
; LDSByteSize: 132 bytes/workgroup (compile time only)
; SGPRBlocks: 2
; VGPRBlocks: 2
; NumSGPRsForWavesPerEU: 22
; NumVGPRsForWavesPerEU: 21
; Occupancy: 16
; WaveLimiterHint : 0
; COMPUTE_PGM_RSRC2:SCRATCH_EN: 0
; COMPUTE_PGM_RSRC2:USER_SGPR: 15
; COMPUTE_PGM_RSRC2:TRAP_HANDLER: 0
; COMPUTE_PGM_RSRC2:TGID_X_EN: 1
; COMPUTE_PGM_RSRC2:TGID_Y_EN: 0
; COMPUTE_PGM_RSRC2:TGID_Z_EN: 0
; COMPUTE_PGM_RSRC2:TIDIG_COMP_CNT: 0
	.section	.text._ZN4vllm32rms_norm_static_fp8_quant_kernelIN3c108BFloat16ENS1_15Float8_e4m3fnuzELi2EEEvPT0_PKT_iS8_PKffii,"axG",@progbits,_ZN4vllm32rms_norm_static_fp8_quant_kernelIN3c108BFloat16ENS1_15Float8_e4m3fnuzELi2EEEvPT0_PKT_iS8_PKffii,comdat
	.protected	_ZN4vllm32rms_norm_static_fp8_quant_kernelIN3c108BFloat16ENS1_15Float8_e4m3fnuzELi2EEEvPT0_PKT_iS8_PKffii ; -- Begin function _ZN4vllm32rms_norm_static_fp8_quant_kernelIN3c108BFloat16ENS1_15Float8_e4m3fnuzELi2EEEvPT0_PKT_iS8_PKffii
	.globl	_ZN4vllm32rms_norm_static_fp8_quant_kernelIN3c108BFloat16ENS1_15Float8_e4m3fnuzELi2EEEvPT0_PKT_iS8_PKffii
	.p2align	8
	.type	_ZN4vllm32rms_norm_static_fp8_quant_kernelIN3c108BFloat16ENS1_15Float8_e4m3fnuzELi2EEEvPT0_PKT_iS8_PKffii,@function
_ZN4vllm32rms_norm_static_fp8_quant_kernelIN3c108BFloat16ENS1_15Float8_e4m3fnuzELi2EEEvPT0_PKT_iS8_PKffii: ; @_ZN4vllm32rms_norm_static_fp8_quant_kernelIN3c108BFloat16ENS1_15Float8_e4m3fnuzELi2EEEvPT0_PKT_iS8_PKffii
; %bb.0:
	s_clause 0x3
	s_load_b32 s2, s[0:1], 0x10
	s_load_b64 s[4:5], s[0:1], 0x8
	s_load_b32 s10, s[0:1], 0x44
	s_load_b32 s13, s[0:1], 0x30
	s_mov_b32 s3, 0
	s_waitcnt lgkmcnt(0)
	s_mul_i32 s2, s15, s2
	s_delay_alu instid0(SALU_CYCLE_1) | instskip(NEXT) | instid1(SALU_CYCLE_1)
	s_lshl_b64 s[6:7], s[2:3], 1
	s_add_u32 s8, s4, s6
	s_addc_u32 s9, s5, s7
	s_and_b32 s2, s8, 3
	s_and_b32 s12, s10, 0xffff
	s_cmp_lg_u64 s[2:3], 0
	s_cselect_b32 s2, -1, 0
	s_bitcmp1_b32 s13, 0
	s_cselect_b32 s3, -1, 0
	s_delay_alu instid0(SALU_CYCLE_1) | instskip(NEXT) | instid1(SALU_CYCLE_1)
	s_or_b32 s2, s2, s3
	s_and_b32 vcc_lo, exec_lo, s2
	s_cbranch_vccz .LBB28_13
; %bb.1:
	s_sub_i32 s2, 0, s8
	v_mov_b32_e32 v4, 0
	s_bfe_u32 s2, s2, 0x10001
	s_mov_b32 s11, exec_lo
	s_min_i32 s10, s2, s13
	s_delay_alu instid0(SALU_CYCLE_1)
	v_cmpx_gt_i32_e64 s10, v0
	s_cbranch_execz .LBB28_4
; %bb.2:
	v_dual_mov_b32 v1, 0 :: v_dual_mov_b32 v4, 0
	s_lshl_b32 s14, s12, 1
	s_mov_b32 s16, 0
	s_mov_b64 s[2:3], s[8:9]
.LBB28_3:                               ; =>This Inner Loop Header: Depth=1
	global_load_u16 v2, v1, s[2:3]
	s_add_i32 s16, s16, s12
	s_add_u32 s2, s2, s14
	s_addc_u32 s3, s3, 0
	s_cmp_ge_i32 s16, s10
	s_waitcnt vmcnt(0)
	v_lshlrev_b32_e32 v2, 16, v2
	s_delay_alu instid0(VALU_DEP_1)
	v_fmac_f32_e32 v4, v2, v2
	s_cbranch_scc0 .LBB28_3
.LBB28_4:
	s_or_b32 exec_lo, exec_lo, s11
	s_sub_i32 s3, s13, s10
	s_ashr_i32 s11, s10, 31
	s_lshr_b32 s2, s3, 31
	s_mov_b32 s16, exec_lo
	s_add_i32 s2, s3, s2
	s_delay_alu instid0(SALU_CYCLE_1) | instskip(NEXT) | instid1(SALU_CYCLE_1)
	s_ashr_i32 s14, s2, 1
	v_cmpx_gt_i32_e64 s14, v0
	s_cbranch_execz .LBB28_8
; %bb.5:
	v_lshlrev_b32_e32 v1, 2, v0
	s_lshl_b64 s[18:19], s[10:11], 1
	s_add_u32 s2, s4, s6
	s_addc_u32 s17, s5, s7
	s_add_u32 s2, s2, s18
	s_addc_u32 s17, s17, s19
	v_add_co_u32 v1, s2, s2, v1
	s_delay_alu instid0(VALU_DEP_1)
	v_add_co_ci_u32_e64 v2, null, s17, 0, s2
	v_mov_b32_e32 v3, v0
	s_mov_b32 s17, 0
	s_lshl_b32 s18, s12, 2
.LBB28_6:                               ; =>This Inner Loop Header: Depth=1
	global_load_b32 v5, v[1:2], off
	v_add_co_u32 v1, vcc_lo, v1, s18
	v_add_co_ci_u32_e32 v2, vcc_lo, 0, v2, vcc_lo
	s_waitcnt vmcnt(0)
	v_lshlrev_b32_e32 v6, 16, v5
	v_add_nc_u32_e32 v3, s12, v3
	s_delay_alu instid0(VALU_DEP_2) | instskip(NEXT) | instid1(VALU_DEP_2)
	v_dual_fmac_f32 v4, v6, v6 :: v_dual_and_b32 v5, 0xffff0000, v5
	v_cmp_le_i32_e64 s2, s14, v3
	s_delay_alu instid0(VALU_DEP_2) | instskip(NEXT) | instid1(VALU_DEP_2)
	v_fmac_f32_e32 v4, v5, v5
	s_or_b32 s17, s2, s17
	s_delay_alu instid0(SALU_CYCLE_1)
	s_and_not1_b32 exec_lo, exec_lo, s17
	s_cbranch_execnz .LBB28_6
; %bb.7:
	s_or_b32 exec_lo, exec_lo, s17
.LBB28_8:
	s_delay_alu instid0(SALU_CYCLE_1) | instskip(SKIP_2) | instid1(VALU_DEP_1)
	s_or_b32 exec_lo, exec_lo, s16
	v_lshl_add_u32 v1, s14, 1, v0
	s_mov_b32 s14, exec_lo
	v_cmpx_gt_i32_e64 s3, v1
	s_cbranch_execz .LBB28_12
; %bb.9:
	v_ashrrev_i32_e32 v2, 31, v1
	s_lshl_b64 s[10:11], s[10:11], 1
	s_add_u32 s2, s4, s6
	s_addc_u32 s16, s5, s7
	s_add_u32 s2, s2, s10
	v_lshlrev_b64 v[2:3], 1, v[1:2]
	s_addc_u32 s10, s16, s11
	s_lshl_b32 s11, s12, 1
	s_delay_alu instid0(VALU_DEP_1) | instskip(NEXT) | instid1(VALU_DEP_2)
	v_add_co_u32 v2, vcc_lo, s2, v2
	v_add_co_ci_u32_e32 v3, vcc_lo, s10, v3, vcc_lo
	s_mov_b32 s10, 0
.LBB28_10:                              ; =>This Inner Loop Header: Depth=1
	global_load_u16 v5, v[2:3], off
	v_add_nc_u32_e32 v1, s12, v1
	v_add_co_u32 v2, vcc_lo, v2, s11
	v_add_co_ci_u32_e32 v3, vcc_lo, 0, v3, vcc_lo
	s_delay_alu instid0(VALU_DEP_3) | instskip(NEXT) | instid1(VALU_DEP_1)
	v_cmp_le_i32_e64 s2, s3, v1
	s_or_b32 s10, s2, s10
	s_waitcnt vmcnt(0)
	v_lshlrev_b32_e32 v5, 16, v5
	s_delay_alu instid0(VALU_DEP_1)
	v_fmac_f32_e32 v4, v5, v5
	s_and_not1_b32 exec_lo, exec_lo, s10
	s_cbranch_execnz .LBB28_10
; %bb.11:
	s_or_b32 exec_lo, exec_lo, s10
.LBB28_12:
	s_delay_alu instid0(SALU_CYCLE_1)
	s_or_b32 exec_lo, exec_lo, s14
	s_branch .LBB28_19
.LBB28_13:
                                        ; implicit-def: $vgpr4
	s_cbranch_execz .LBB28_19
; %bb.14:
	v_mov_b32_e32 v4, 0
	s_ashr_i32 s10, s13, 1
	s_mov_b32 s3, exec_lo
	v_cmpx_gt_i32_e64 s10, v0
	s_cbranch_execz .LBB28_18
; %bb.15:
	v_dual_mov_b32 v4, 0 :: v_dual_lshlrev_b32 v1, 2, v0
	s_add_u32 s2, s4, s6
	s_addc_u32 s4, s5, s7
	v_mov_b32_e32 v3, v0
	s_delay_alu instid0(VALU_DEP_2) | instskip(NEXT) | instid1(VALU_DEP_1)
	v_add_co_u32 v1, s2, s2, v1
	v_add_co_ci_u32_e64 v2, null, s4, 0, s2
	s_mov_b32 s4, 0
	s_lshl_b32 s5, s12, 2
.LBB28_16:                              ; =>This Inner Loop Header: Depth=1
	global_load_b32 v5, v[1:2], off
	v_add_co_u32 v1, vcc_lo, v1, s5
	v_add_co_ci_u32_e32 v2, vcc_lo, 0, v2, vcc_lo
	s_waitcnt vmcnt(0)
	v_lshlrev_b32_e32 v6, 16, v5
	v_add_nc_u32_e32 v3, s12, v3
	s_delay_alu instid0(VALU_DEP_2) | instskip(NEXT) | instid1(VALU_DEP_2)
	v_dual_fmac_f32 v4, v6, v6 :: v_dual_and_b32 v5, 0xffff0000, v5
	v_cmp_le_i32_e64 s2, s10, v3
	s_delay_alu instid0(VALU_DEP_2) | instskip(NEXT) | instid1(VALU_DEP_2)
	v_fmac_f32_e32 v4, v5, v5
	s_or_b32 s4, s2, s4
	s_delay_alu instid0(SALU_CYCLE_1)
	s_and_not1_b32 exec_lo, exec_lo, s4
	s_cbranch_execnz .LBB28_16
; %bb.17:
	s_or_b32 exec_lo, exec_lo, s4
.LBB28_18:
	s_delay_alu instid0(SALU_CYCLE_1)
	s_or_b32 exec_lo, exec_lo, s3
.LBB28_19:
	v_mbcnt_lo_u32_b32 v1, -1, 0
	v_and_b32_e32 v3, 0x3e0, v0
	s_mov_b32 s2, exec_lo
	s_delay_alu instid0(VALU_DEP_2) | instskip(NEXT) | instid1(VALU_DEP_2)
	v_cmp_ne_u32_e32 vcc_lo, 31, v1
	v_sub_nc_u32_e64 v12, s12, v3 clamp
	v_add_nc_u32_e32 v3, 1, v1
	v_add_co_ci_u32_e32 v2, vcc_lo, 0, v1, vcc_lo
	v_cmp_gt_u32_e32 vcc_lo, 30, v1
	s_delay_alu instid0(VALU_DEP_2)
	v_lshlrev_b32_e32 v2, 2, v2
	v_cndmask_b32_e64 v6, 0, 1, vcc_lo
	v_cmp_lt_u32_e32 vcc_lo, v3, v12
	ds_bpermute_b32 v5, v2, v4
	s_waitcnt lgkmcnt(0)
	v_dual_add_f32 v7, v4, v5 :: v_dual_lshlrev_b32 v6, 1, v6
	s_delay_alu instid0(VALU_DEP_1) | instskip(NEXT) | instid1(VALU_DEP_2)
	v_cndmask_b32_e32 v7, v4, v7, vcc_lo
	v_add_lshl_u32 v5, v6, v1, 2
	v_cmp_gt_u32_e32 vcc_lo, 28, v1
	ds_bpermute_b32 v6, v5, v7
	v_cndmask_b32_e64 v4, 0, 1, vcc_lo
	s_delay_alu instid0(VALU_DEP_1) | instskip(SKIP_1) | instid1(VALU_DEP_1)
	v_lshlrev_b32_e32 v8, 2, v4
	v_add_nc_u32_e32 v4, 2, v1
	v_cmp_lt_u32_e32 vcc_lo, v4, v12
	s_waitcnt lgkmcnt(0)
	v_add_f32_e32 v9, v7, v6
	v_add_lshl_u32 v6, v8, v1, 2
	s_delay_alu instid0(VALU_DEP_2) | instskip(SKIP_2) | instid1(VALU_DEP_1)
	v_cndmask_b32_e32 v9, v7, v9, vcc_lo
	v_cmp_gt_u32_e32 vcc_lo, 24, v1
	v_cndmask_b32_e64 v7, 0, 1, vcc_lo
	v_lshlrev_b32_e32 v10, 3, v7
	ds_bpermute_b32 v8, v6, v9
	v_add_nc_u32_e32 v7, 4, v1
	s_delay_alu instid0(VALU_DEP_1) | instskip(SKIP_3) | instid1(VALU_DEP_2)
	v_cmp_lt_u32_e32 vcc_lo, v7, v12
	s_waitcnt lgkmcnt(0)
	v_add_f32_e32 v11, v9, v8
	v_add_lshl_u32 v8, v10, v1, 2
	v_cndmask_b32_e32 v11, v9, v11, vcc_lo
	v_cmp_gt_u32_e32 vcc_lo, 16, v1
	ds_bpermute_b32 v10, v8, v11
	v_cndmask_b32_e64 v9, 0, 1, vcc_lo
	s_delay_alu instid0(VALU_DEP_1) | instskip(SKIP_1) | instid1(VALU_DEP_1)
	v_lshlrev_b32_e32 v13, 4, v9
	v_add_nc_u32_e32 v9, 8, v1
	v_cmp_lt_u32_e32 vcc_lo, v9, v12
	s_waitcnt lgkmcnt(0)
	v_add_f32_e32 v14, v11, v10
	v_add_lshl_u32 v10, v13, v1, 2
	s_delay_alu instid0(VALU_DEP_2)
	v_cndmask_b32_e32 v13, v11, v14, vcc_lo
	v_add_nc_u32_e32 v11, 16, v1
	ds_bpermute_b32 v14, v10, v13
	v_cmp_lt_u32_e32 vcc_lo, v11, v12
	s_waitcnt lgkmcnt(0)
	v_add_f32_e32 v14, v13, v14
	s_delay_alu instid0(VALU_DEP_1)
	v_cndmask_b32_e32 v12, v13, v14, vcc_lo
	v_cmpx_eq_u32_e32 0, v1
	s_cbranch_execz .LBB28_21
; %bb.20:
	v_lshrrev_b32_e32 v13, 3, v0
	s_delay_alu instid0(VALU_DEP_1)
	v_and_b32_e32 v13, 0x7c, v13
	ds_store_b32 v13, v12
.LBB28_21:
	s_or_b32 exec_lo, exec_lo, s2
	s_delay_alu instid0(SALU_CYCLE_1)
	s_mov_b32 s2, exec_lo
	s_waitcnt lgkmcnt(0)
	s_barrier
	buffer_gl0_inv
	v_cmpx_gt_u32_e32 32, v0
	s_cbranch_execz .LBB28_23
; %bb.22:
	v_lshlrev_b32_e32 v1, 2, v1
	s_add_i32 s3, s12, 31
	s_delay_alu instid0(SALU_CYCLE_1) | instskip(NEXT) | instid1(SALU_CYCLE_1)
	s_lshr_b32 s3, s3, 5
	v_cmp_gt_u32_e32 vcc_lo, s3, v3
	ds_load_b32 v1, v1
	s_waitcnt lgkmcnt(0)
	ds_bpermute_b32 v2, v2, v1
	s_waitcnt lgkmcnt(0)
	v_add_f32_e32 v2, v1, v2
	s_delay_alu instid0(VALU_DEP_1) | instskip(SKIP_4) | instid1(VALU_DEP_1)
	v_cndmask_b32_e32 v1, v1, v2, vcc_lo
	v_cmp_gt_u32_e32 vcc_lo, s3, v4
	ds_bpermute_b32 v2, v5, v1
	s_waitcnt lgkmcnt(0)
	v_add_f32_e32 v2, v1, v2
	v_cndmask_b32_e32 v1, v1, v2, vcc_lo
	v_cmp_gt_u32_e32 vcc_lo, s3, v7
	ds_bpermute_b32 v2, v6, v1
	s_waitcnt lgkmcnt(0)
	v_add_f32_e32 v2, v1, v2
	s_delay_alu instid0(VALU_DEP_1) | instskip(SKIP_4) | instid1(VALU_DEP_1)
	v_cndmask_b32_e32 v1, v1, v2, vcc_lo
	v_cmp_gt_u32_e32 vcc_lo, s3, v9
	ds_bpermute_b32 v2, v8, v1
	s_waitcnt lgkmcnt(0)
	v_add_f32_e32 v2, v1, v2
	v_cndmask_b32_e32 v1, v1, v2, vcc_lo
	v_cmp_gt_u32_e32 vcc_lo, s3, v11
	ds_bpermute_b32 v2, v10, v1
	s_waitcnt lgkmcnt(0)
	v_add_f32_e32 v2, v1, v2
	s_delay_alu instid0(VALU_DEP_1)
	v_cndmask_b32_e32 v12, v1, v2, vcc_lo
.LBB28_23:
	s_or_b32 exec_lo, exec_lo, s2
	s_delay_alu instid0(SALU_CYCLE_1)
	s_mov_b32 s2, exec_lo
	v_cmpx_eq_u32_e32 0, v0
	s_cbranch_execz .LBB28_25
; %bb.24:
	v_cvt_f32_i32_e32 v1, s13
	s_load_b32 s3, s[0:1], 0x28
	s_delay_alu instid0(VALU_DEP_1) | instskip(SKIP_1) | instid1(VALU_DEP_2)
	v_div_scale_f32 v2, null, v1, v1, v12
	v_div_scale_f32 v5, vcc_lo, v12, v1, v12
	v_rcp_f32_e32 v3, v2
	s_waitcnt_depctr 0xfff
	v_fma_f32 v4, -v2, v3, 1.0
	s_delay_alu instid0(VALU_DEP_1) | instskip(NEXT) | instid1(VALU_DEP_1)
	v_fmac_f32_e32 v3, v4, v3
	v_mul_f32_e32 v4, v5, v3
	s_delay_alu instid0(VALU_DEP_1) | instskip(NEXT) | instid1(VALU_DEP_1)
	v_fma_f32 v6, -v2, v4, v5
	v_fmac_f32_e32 v4, v6, v3
	s_delay_alu instid0(VALU_DEP_1) | instskip(NEXT) | instid1(VALU_DEP_1)
	v_fma_f32 v2, -v2, v4, v5
	v_div_fmas_f32 v2, v2, v3, v4
	s_delay_alu instid0(VALU_DEP_1) | instskip(SKIP_1) | instid1(VALU_DEP_1)
	v_div_fixup_f32 v1, v2, v1, v12
	s_waitcnt lgkmcnt(0)
	v_add_f32_e32 v1, s3, v1
	s_delay_alu instid0(VALU_DEP_1) | instskip(SKIP_1) | instid1(VALU_DEP_2)
	v_mul_f32_e32 v2, 0x4b800000, v1
	v_cmp_gt_f32_e32 vcc_lo, 0x800000, v1
	v_cndmask_b32_e32 v1, v1, v2, vcc_lo
	s_delay_alu instid0(VALU_DEP_1) | instskip(SKIP_2) | instid1(VALU_DEP_1)
	v_rsq_f32_e32 v1, v1
	s_waitcnt_depctr 0xfff
	v_mul_f32_e32 v2, 0x45800000, v1
	v_dual_cndmask_b32 v1, v1, v2 :: v_dual_mov_b32 v2, 0
	ds_store_b32 v2, v1 offset:128
.LBB28_25:
	s_or_b32 exec_lo, exec_lo, s2
	s_lshr_b32 s2, s13, 31
	s_waitcnt lgkmcnt(0)
	s_add_i32 s2, s13, s2
	s_barrier
	s_ashr_i32 s10, s2, 1
	buffer_gl0_inv
	s_mov_b32 s2, exec_lo
	v_cmpx_gt_i32_e64 s10, v0
	s_cbranch_execz .LBB28_48
; %bb.26:
	s_clause 0x1
	s_load_b128 s[4:7], s[0:1], 0x18
	s_load_b64 s[2:3], s[0:1], 0x0
	s_mul_i32 s15, s15, s13
	s_lshl_b32 s11, s12, 2
	v_lshl_add_u32 v8, v0, 1, s15
	s_mov_b32 s13, 0x43600000
	s_waitcnt lgkmcnt(0)
	s_load_b32 s7, s[6:7], 0x0
	s_lshl_b32 s6, s12, 1
	s_waitcnt lgkmcnt(0)
	v_div_scale_f32 v1, null, s7, s7, 1.0
	v_div_scale_f32 v4, vcc_lo, 1.0, s7, 1.0
	s_delay_alu instid0(VALU_DEP_2) | instskip(SKIP_2) | instid1(VALU_DEP_1)
	v_rcp_f32_e32 v3, v1
	s_waitcnt_depctr 0xfff
	v_fma_f32 v2, -v1, v3, 1.0
	v_dual_fmac_f32 v3, v2, v3 :: v_dual_mov_b32 v2, 0
	s_delay_alu instid0(VALU_DEP_1) | instskip(SKIP_2) | instid1(VALU_DEP_1)
	v_mul_f32_e32 v5, v4, v3
	ds_load_b32 v7, v2 offset:128
	v_fma_f32 v6, -v1, v5, v4
	v_fmac_f32_e32 v5, v6, v3
	s_delay_alu instid0(VALU_DEP_1) | instskip(NEXT) | instid1(VALU_DEP_1)
	v_fma_f32 v1, -v1, v5, v4
	v_div_fmas_f32 v3, v1, v3, v5
	v_lshlrev_b32_e32 v1, 2, v0
	s_delay_alu instid0(VALU_DEP_2) | instskip(NEXT) | instid1(VALU_DEP_2)
	v_div_fixup_f32 v9, v3, s7, 1.0
	v_dual_mov_b32 v4, v2 :: v_dual_mov_b32 v3, v1
	s_mov_b32 s7, 0
	s_branch .LBB28_31
.LBB28_27:                              ;   in Loop: Header=BB28_31 Depth=1
	s_or_b32 exec_lo, exec_lo, s0
	s_delay_alu instid0(VALU_DEP_2) | instskip(NEXT) | instid1(VALU_DEP_2)
	v_lshrrev_b64 v[5:6], 20, v[5:6]
	v_cmp_gt_i32_e32 vcc_lo, 16, v1
	v_and_b32_e32 v10, 0x80, v10
	v_min_i32_e32 v11, 15, v1
	v_cmp_eq_u32_e64 s0, 0, v1
	v_dual_cndmask_b32 v5, 7, v5 :: v_dual_cndmask_b32 v6, 0, v6
	s_delay_alu instid0(VALU_DEP_3) | instskip(NEXT) | instid1(VALU_DEP_2)
	v_lshl_or_b32 v10, v11, 3, v10
	v_cmp_eq_u64_e32 vcc_lo, 0, v[5:6]
	s_delay_alu instid0(VALU_DEP_2)
	v_and_or_b32 v1, v5, 7, v10
	s_and_b32 s0, s0, vcc_lo
	s_delay_alu instid0(VALU_DEP_1) | instid1(SALU_CYCLE_1)
	v_cndmask_b32_e64 v6, v1, 0, s0
.LBB28_28:                              ;   in Loop: Header=BB28_31 Depth=1
	s_or_b32 exec_lo, exec_lo, s16
.LBB28_29:                              ;   in Loop: Header=BB28_31 Depth=1
	s_and_not1_saveexec_b32 s0, s15
	s_delay_alu instid0(SALU_CYCLE_1)
	s_or_b32 exec_lo, exec_lo, s0
.LBB28_30:                              ;   in Loop: Header=BB28_31 Depth=1
	s_and_not1_saveexec_b32 s0, s14
	s_delay_alu instid0(SALU_CYCLE_1) | instskip(SKIP_4) | instid1(VALU_DEP_4)
	s_or_b32 exec_lo, exec_lo, s0
	v_add_nc_u32_e32 v0, s12, v0
	v_add_co_u32 v3, s0, v3, s11
	v_add_nc_u32_e32 v1, 1, v8
	v_add_nc_u32_e32 v8, s6, v8
	v_cmp_le_i32_e32 vcc_lo, s10, v0
	v_add_co_ci_u32_e64 v4, s0, 0, v4, s0
	global_store_b8 v1, v6, s[2:3]
	s_or_b32 s7, vcc_lo, s7
	s_delay_alu instid0(SALU_CYCLE_1)
	s_and_not1_b32 exec_lo, exec_lo, s7
	s_cbranch_execz .LBB28_48
.LBB28_31:                              ; =>This Inner Loop Header: Depth=1
	s_delay_alu instid0(VALU_DEP_1) | instskip(NEXT) | instid1(VALU_DEP_2)
	v_add_co_u32 v5, vcc_lo, s8, v3
	v_add_co_ci_u32_e32 v6, vcc_lo, s9, v4, vcc_lo
	s_mov_b32 s0, exec_lo
	global_load_b32 v11, v[5:6], off
	v_add_co_u32 v5, vcc_lo, s4, v3
	v_add_co_ci_u32_e32 v6, vcc_lo, s5, v4, vcc_lo
	global_load_b32 v10, v[5:6], off
	s_waitcnt vmcnt(1)
	v_lshlrev_b32_e32 v1, 16, v11
	s_waitcnt lgkmcnt(0)
	s_delay_alu instid0(VALU_DEP_1) | instskip(NEXT) | instid1(VALU_DEP_1)
	v_mul_f32_e32 v1, v7, v1
	v_bfe_u32 v5, v1, 16, 1
	v_cmp_o_f32_e32 vcc_lo, v1, v1
	s_delay_alu instid0(VALU_DEP_2) | instskip(NEXT) | instid1(VALU_DEP_1)
	v_add3_u32 v5, v1, v5, 0x7fff
	v_and_b32_e32 v5, 0xffff0000, v5
	s_delay_alu instid0(VALU_DEP_1) | instskip(SKIP_2) | instid1(VALU_DEP_1)
	v_cndmask_b32_e32 v1, 0x7fc00000, v5, vcc_lo
	s_waitcnt vmcnt(0)
	v_lshlrev_b32_e32 v5, 16, v10
	v_mul_f32_e32 v1, v1, v5
	s_delay_alu instid0(VALU_DEP_1) | instskip(SKIP_1) | instid1(VALU_DEP_2)
	v_bfe_u32 v5, v1, 16, 1
	v_cmp_o_f32_e32 vcc_lo, v1, v1
	v_add3_u32 v5, v1, v5, 0x7fff
	s_delay_alu instid0(VALU_DEP_1) | instskip(NEXT) | instid1(VALU_DEP_1)
	v_and_b32_e32 v5, 0xffff0000, v5
	v_cndmask_b32_e32 v1, 0x7fc00000, v5, vcc_lo
	s_delay_alu instid0(VALU_DEP_1) | instskip(NEXT) | instid1(VALU_DEP_1)
	v_mul_f32_e32 v1, v9, v1
	v_minmax_f32 v6, v1, s13, 0xc3600000
	s_delay_alu instid0(VALU_DEP_1) | instskip(SKIP_1) | instid1(VALU_DEP_2)
	v_lshrrev_b32_e32 v12, 24, v6
	v_and_b32_e32 v1, 0x7f800000, v6
	v_or_b32_e32 v5, 0x7f, v12
	s_delay_alu instid0(VALU_DEP_2)
	v_cmpx_ne_u64_e32 0x7f800000, v[1:2]
	s_xor_b32 s14, exec_lo, s0
	s_cbranch_execz .LBB28_41
; %bb.32:                               ;   in Loop: Header=BB28_31 Depth=1
	v_and_b32_e32 v1, 0x7fffffff, v6
	s_mov_b32 s0, exec_lo
	s_delay_alu instid0(VALU_DEP_1)
	v_cmpx_gt_u64_e32 0x43700001, v[1:2]
	s_xor_b32 s15, exec_lo, s0
	s_cbranch_execz .LBB28_40
; %bb.33:                               ;   in Loop: Header=BB28_31 Depth=1
	v_mov_b32_e32 v5, 0
	s_mov_b32 s16, exec_lo
	v_cmpx_ne_u32_e32 0, v6
	s_cbranch_execz .LBB28_39
; %bb.34:                               ;   in Loop: Header=BB28_31 Depth=1
	v_bfe_u32 v17, v6, 23, 8
	v_and_b32_e32 v5, 0x7fffff, v6
	s_delay_alu instid0(VALU_DEP_2) | instskip(SKIP_2) | instid1(VALU_DEP_3)
	v_sub_nc_u32_e64 v1, 0x78, v17 clamp
	v_cmp_eq_u32_e32 vcc_lo, 0, v17
	v_add_nc_u32_e32 v17, 0xffffff89, v17
	v_cndmask_b32_e64 v18, v1, 0x77, vcc_lo
	v_or_b32_e32 v1, 0x800000, v5
	s_delay_alu instid0(VALU_DEP_1) | instskip(SKIP_1) | instid1(VALU_DEP_2)
	v_dual_cndmask_b32 v1, v1, v5 :: v_dual_add_nc_u32 v6, 20, v18
	v_add_nc_u32_e32 v13, 19, v18
	v_lshlrev_b64 v[5:6], v6, -1
	s_delay_alu instid0(VALU_DEP_3) | instskip(NEXT) | instid1(VALU_DEP_3)
	v_lshrrev_b64 v[15:16], v18, v[1:2]
	v_lshlrev_b64 v[13:14], v13, 1
	v_mov_b32_e32 v6, v2
	s_delay_alu instid0(VALU_DEP_4) | instskip(NEXT) | instid1(VALU_DEP_1)
	v_not_b32_e32 v5, v5
	v_and_b32_e32 v5, v1, v5
	v_and_b32_e32 v1, 0x100000, v15
	s_delay_alu instid0(VALU_DEP_2) | instskip(NEXT) | instid1(VALU_DEP_2)
	v_cmp_eq_u64_e64 s0, v[5:6], v[13:14]
	v_cmp_eq_u64_e64 s1, 0, v[1:2]
	v_cndmask_b32_e64 v1, v17, 0xffffff8a, vcc_lo
	v_lshrrev_b32_e32 v5, 23, v15
	s_delay_alu instid0(VALU_DEP_3) | instskip(NEXT) | instid1(VALU_DEP_1)
	s_and_b32 vcc_lo, s1, s0
	v_add3_u32 v13, v1, v18, v5
	v_subrev_co_ci_u32_e32 v6, vcc_lo, 0, v15, vcc_lo
	s_mov_b32 s0, exec_lo
	s_delay_alu instid0(VALU_DEP_2) | instskip(NEXT) | instid1(VALU_DEP_2)
	v_add_nc_u32_e32 v14, -1, v13
	v_and_b32_e32 v1, 0xfffff, v6
	s_delay_alu instid0(VALU_DEP_1) | instskip(SKIP_1) | instid1(VALU_DEP_4)
	v_add_co_u32 v5, vcc_lo, v1, v15
	v_add_co_ci_u32_e32 v6, vcc_lo, 0, v16, vcc_lo
                                        ; implicit-def: $vgpr1
	v_cmpx_ne_u32_e32 0, v14
	s_xor_b32 s0, exec_lo, s0
; %bb.35:                               ;   in Loop: Header=BB28_31 Depth=1
	s_delay_alu instid0(VALU_DEP_3) | instskip(SKIP_1) | instid1(VALU_DEP_2)
	v_and_b32_e32 v1, 0x1000000, v5
	v_bfe_u32 v15, v5, 24, 1
	v_cmp_eq_u64_e32 vcc_lo, 0, v[1:2]
	s_delay_alu instid0(VALU_DEP_2)
	v_lshrrev_b64 v[5:6], v15, v[5:6]
	v_cndmask_b32_e32 v1, v13, v14, vcc_lo
; %bb.36:                               ;   in Loop: Header=BB28_31 Depth=1
	s_and_not1_saveexec_b32 s0, s0
; %bb.37:                               ;   in Loop: Header=BB28_31 Depth=1
	s_delay_alu instid0(VALU_DEP_2)
	v_bfe_u32 v1, v5, 23, 1
; %bb.38:                               ;   in Loop: Header=BB28_31 Depth=1
	s_or_b32 exec_lo, exec_lo, s0
	s_delay_alu instid0(VALU_DEP_3) | instskip(NEXT) | instid1(VALU_DEP_2)
	v_lshrrev_b64 v[5:6], 20, v[5:6]
	v_cmp_gt_i32_e32 vcc_lo, 16, v1
	v_and_b32_e32 v12, 0x80, v12
	v_min_i32_e32 v13, 15, v1
	v_cmp_eq_u32_e64 s0, 0, v1
	v_dual_cndmask_b32 v5, 7, v5 :: v_dual_cndmask_b32 v6, 0, v6
	s_delay_alu instid0(VALU_DEP_3) | instskip(NEXT) | instid1(VALU_DEP_2)
	v_lshl_or_b32 v12, v13, 3, v12
	v_cmp_eq_u64_e32 vcc_lo, 0, v[5:6]
	s_delay_alu instid0(VALU_DEP_2)
	v_and_or_b32 v1, v5, 7, v12
	s_and_b32 s0, s0, vcc_lo
	s_delay_alu instid0(VALU_DEP_1) | instid1(SALU_CYCLE_1)
	v_cndmask_b32_e64 v5, v1, 0, s0
.LBB28_39:                              ;   in Loop: Header=BB28_31 Depth=1
	s_or_b32 exec_lo, exec_lo, s16
.LBB28_40:                              ;   in Loop: Header=BB28_31 Depth=1
	s_and_not1_saveexec_b32 s0, s15
	s_delay_alu instid0(SALU_CYCLE_1)
	s_or_b32 exec_lo, exec_lo, s0
.LBB28_41:                              ;   in Loop: Header=BB28_31 Depth=1
	s_and_not1_saveexec_b32 s0, s14
	s_delay_alu instid0(SALU_CYCLE_1)
	s_or_b32 exec_lo, exec_lo, s0
	v_and_b32_e32 v1, 0xffff0000, v11
	v_and_b32_e32 v10, 0xffff0000, v10
	global_store_b8 v8, v5, s[2:3]
	s_mov_b32 s0, exec_lo
	v_mul_f32_e32 v1, v7, v1
	s_delay_alu instid0(VALU_DEP_1) | instskip(NEXT) | instid1(VALU_DEP_1)
	v_bfe_u32 v6, v1, 16, 1
	v_add3_u32 v6, v1, v6, 0x7fff
	s_delay_alu instid0(VALU_DEP_1) | instskip(SKIP_1) | instid1(VALU_DEP_2)
	v_and_b32_e32 v6, 0xffff0000, v6
	v_cmp_o_f32_e32 vcc_lo, v1, v1
	v_cndmask_b32_e32 v1, 0x7fc00000, v6, vcc_lo
	s_delay_alu instid0(VALU_DEP_1) | instskip(NEXT) | instid1(VALU_DEP_1)
	v_mul_f32_e32 v1, v1, v10
	v_bfe_u32 v6, v1, 16, 1
	v_cmp_o_f32_e32 vcc_lo, v1, v1
	s_delay_alu instid0(VALU_DEP_2) | instskip(NEXT) | instid1(VALU_DEP_1)
	v_add3_u32 v6, v1, v6, 0x7fff
	v_and_b32_e32 v6, 0xffff0000, v6
	s_delay_alu instid0(VALU_DEP_1) | instskip(NEXT) | instid1(VALU_DEP_1)
	v_cndmask_b32_e32 v1, 0x7fc00000, v6, vcc_lo
	v_mul_f32_e32 v1, v9, v1
	s_delay_alu instid0(VALU_DEP_1) | instskip(NEXT) | instid1(VALU_DEP_1)
	v_minmax_f32 v11, v1, s13, 0xc3600000
	v_lshrrev_b32_e32 v10, 24, v11
	v_and_b32_e32 v1, 0x7f800000, v11
	s_delay_alu instid0(VALU_DEP_2) | instskip(NEXT) | instid1(VALU_DEP_2)
	v_or_b32_e32 v6, 0x7f, v10
	v_cmpx_ne_u64_e32 0x7f800000, v[1:2]
	s_xor_b32 s14, exec_lo, s0
	s_cbranch_execz .LBB28_30
; %bb.42:                               ;   in Loop: Header=BB28_31 Depth=1
	v_and_b32_e32 v1, 0x7fffffff, v11
	s_mov_b32 s0, exec_lo
	s_delay_alu instid0(VALU_DEP_1)
	v_cmpx_gt_u64_e32 0x43700001, v[1:2]
	s_xor_b32 s15, exec_lo, s0
	s_cbranch_execz .LBB28_29
; %bb.43:                               ;   in Loop: Header=BB28_31 Depth=1
	v_mov_b32_e32 v6, 0
	s_mov_b32 s16, exec_lo
	v_cmpx_ne_u32_e32 0, v11
	s_cbranch_execz .LBB28_28
; %bb.44:                               ;   in Loop: Header=BB28_31 Depth=1
	v_bfe_u32 v15, v11, 23, 8
	v_and_b32_e32 v5, 0x7fffff, v11
	s_delay_alu instid0(VALU_DEP_2) | instskip(SKIP_2) | instid1(VALU_DEP_3)
	v_sub_nc_u32_e64 v1, 0x78, v15 clamp
	v_cmp_eq_u32_e32 vcc_lo, 0, v15
	v_add_nc_u32_e32 v15, 0xffffff89, v15
	v_cndmask_b32_e64 v16, v1, 0x77, vcc_lo
	v_or_b32_e32 v1, 0x800000, v5
	s_delay_alu instid0(VALU_DEP_1) | instskip(SKIP_1) | instid1(VALU_DEP_2)
	v_dual_cndmask_b32 v1, v1, v5 :: v_dual_add_nc_u32 v6, 20, v16
	v_add_nc_u32_e32 v11, 19, v16
	v_lshlrev_b64 v[5:6], v6, -1
	s_delay_alu instid0(VALU_DEP_3) | instskip(NEXT) | instid1(VALU_DEP_3)
	v_lshrrev_b64 v[13:14], v16, v[1:2]
	v_lshlrev_b64 v[11:12], v11, 1
	v_mov_b32_e32 v6, v2
	s_delay_alu instid0(VALU_DEP_4) | instskip(NEXT) | instid1(VALU_DEP_1)
	v_not_b32_e32 v5, v5
	v_and_b32_e32 v5, v1, v5
	v_and_b32_e32 v1, 0x100000, v13
	s_delay_alu instid0(VALU_DEP_2) | instskip(NEXT) | instid1(VALU_DEP_2)
	v_cmp_eq_u64_e64 s0, v[5:6], v[11:12]
	v_cmp_eq_u64_e64 s1, 0, v[1:2]
	v_cndmask_b32_e64 v1, v15, 0xffffff8a, vcc_lo
	v_lshrrev_b32_e32 v5, 23, v13
	s_delay_alu instid0(VALU_DEP_3) | instskip(NEXT) | instid1(VALU_DEP_1)
	s_and_b32 vcc_lo, s1, s0
	v_add3_u32 v11, v1, v16, v5
	v_subrev_co_ci_u32_e32 v6, vcc_lo, 0, v13, vcc_lo
	s_mov_b32 s0, exec_lo
	s_delay_alu instid0(VALU_DEP_2) | instskip(NEXT) | instid1(VALU_DEP_2)
	v_add_nc_u32_e32 v12, -1, v11
	v_and_b32_e32 v1, 0xfffff, v6
	s_delay_alu instid0(VALU_DEP_1) | instskip(SKIP_1) | instid1(VALU_DEP_4)
	v_add_co_u32 v5, vcc_lo, v1, v13
	v_add_co_ci_u32_e32 v6, vcc_lo, 0, v14, vcc_lo
                                        ; implicit-def: $vgpr1
	v_cmpx_ne_u32_e32 0, v12
	s_xor_b32 s0, exec_lo, s0
; %bb.45:                               ;   in Loop: Header=BB28_31 Depth=1
	s_delay_alu instid0(VALU_DEP_3) | instskip(SKIP_1) | instid1(VALU_DEP_2)
	v_and_b32_e32 v1, 0x1000000, v5
	v_bfe_u32 v13, v5, 24, 1
	v_cmp_eq_u64_e32 vcc_lo, 0, v[1:2]
	s_delay_alu instid0(VALU_DEP_2)
	v_lshrrev_b64 v[5:6], v13, v[5:6]
	v_cndmask_b32_e32 v1, v11, v12, vcc_lo
; %bb.46:                               ;   in Loop: Header=BB28_31 Depth=1
	s_and_not1_saveexec_b32 s0, s0
	s_cbranch_execz .LBB28_27
; %bb.47:                               ;   in Loop: Header=BB28_31 Depth=1
	s_delay_alu instid0(VALU_DEP_2)
	v_bfe_u32 v1, v5, 23, 1
	s_branch .LBB28_27
.LBB28_48:
	s_nop 0
	s_sendmsg sendmsg(MSG_DEALLOC_VGPRS)
	s_endpgm
	.section	.rodata,"a",@progbits
	.p2align	6, 0x0
	.amdhsa_kernel _ZN4vllm32rms_norm_static_fp8_quant_kernelIN3c108BFloat16ENS1_15Float8_e4m3fnuzELi2EEEvPT0_PKT_iS8_PKffii
		.amdhsa_group_segment_fixed_size 132
		.amdhsa_private_segment_fixed_size 0
		.amdhsa_kernarg_size 312
		.amdhsa_user_sgpr_count 15
		.amdhsa_user_sgpr_dispatch_ptr 0
		.amdhsa_user_sgpr_queue_ptr 0
		.amdhsa_user_sgpr_kernarg_segment_ptr 1
		.amdhsa_user_sgpr_dispatch_id 0
		.amdhsa_user_sgpr_private_segment_size 0
		.amdhsa_wavefront_size32 1
		.amdhsa_uses_dynamic_stack 0
		.amdhsa_enable_private_segment 0
		.amdhsa_system_sgpr_workgroup_id_x 1
		.amdhsa_system_sgpr_workgroup_id_y 0
		.amdhsa_system_sgpr_workgroup_id_z 0
		.amdhsa_system_sgpr_workgroup_info 0
		.amdhsa_system_vgpr_workitem_id 0
		.amdhsa_next_free_vgpr 19
		.amdhsa_next_free_sgpr 20
		.amdhsa_reserve_vcc 1
		.amdhsa_float_round_mode_32 0
		.amdhsa_float_round_mode_16_64 0
		.amdhsa_float_denorm_mode_32 3
		.amdhsa_float_denorm_mode_16_64 3
		.amdhsa_dx10_clamp 1
		.amdhsa_ieee_mode 1
		.amdhsa_fp16_overflow 0
		.amdhsa_workgroup_processor_mode 1
		.amdhsa_memory_ordered 1
		.amdhsa_forward_progress 0
		.amdhsa_shared_vgpr_count 0
		.amdhsa_exception_fp_ieee_invalid_op 0
		.amdhsa_exception_fp_denorm_src 0
		.amdhsa_exception_fp_ieee_div_zero 0
		.amdhsa_exception_fp_ieee_overflow 0
		.amdhsa_exception_fp_ieee_underflow 0
		.amdhsa_exception_fp_ieee_inexact 0
		.amdhsa_exception_int_div_zero 0
	.end_amdhsa_kernel
	.section	.text._ZN4vllm32rms_norm_static_fp8_quant_kernelIN3c108BFloat16ENS1_15Float8_e4m3fnuzELi2EEEvPT0_PKT_iS8_PKffii,"axG",@progbits,_ZN4vllm32rms_norm_static_fp8_quant_kernelIN3c108BFloat16ENS1_15Float8_e4m3fnuzELi2EEEvPT0_PKT_iS8_PKffii,comdat
.Lfunc_end28:
	.size	_ZN4vllm32rms_norm_static_fp8_quant_kernelIN3c108BFloat16ENS1_15Float8_e4m3fnuzELi2EEEvPT0_PKT_iS8_PKffii, .Lfunc_end28-_ZN4vllm32rms_norm_static_fp8_quant_kernelIN3c108BFloat16ENS1_15Float8_e4m3fnuzELi2EEEvPT0_PKT_iS8_PKffii
                                        ; -- End function
	.section	.AMDGPU.csdata,"",@progbits
; Kernel info:
; codeLenInByte = 3128
; NumSgprs: 22
; NumVgprs: 19
; ScratchSize: 0
; MemoryBound: 0
; FloatMode: 240
; IeeeMode: 1
; LDSByteSize: 132 bytes/workgroup (compile time only)
; SGPRBlocks: 2
; VGPRBlocks: 2
; NumSGPRsForWavesPerEU: 22
; NumVGPRsForWavesPerEU: 19
; Occupancy: 16
; WaveLimiterHint : 0
; COMPUTE_PGM_RSRC2:SCRATCH_EN: 0
; COMPUTE_PGM_RSRC2:USER_SGPR: 15
; COMPUTE_PGM_RSRC2:TRAP_HANDLER: 0
; COMPUTE_PGM_RSRC2:TGID_X_EN: 1
; COMPUTE_PGM_RSRC2:TGID_Y_EN: 0
; COMPUTE_PGM_RSRC2:TGID_Z_EN: 0
; COMPUTE_PGM_RSRC2:TIDIG_COMP_CNT: 0
	.section	.text._ZN4vllm32rms_norm_static_fp8_quant_kernelIN3c108BFloat16ENS1_15Float8_e4m3fnuzELi1EEEvPT0_PKT_iS8_PKffii,"axG",@progbits,_ZN4vllm32rms_norm_static_fp8_quant_kernelIN3c108BFloat16ENS1_15Float8_e4m3fnuzELi1EEEvPT0_PKT_iS8_PKffii,comdat
	.protected	_ZN4vllm32rms_norm_static_fp8_quant_kernelIN3c108BFloat16ENS1_15Float8_e4m3fnuzELi1EEEvPT0_PKT_iS8_PKffii ; -- Begin function _ZN4vllm32rms_norm_static_fp8_quant_kernelIN3c108BFloat16ENS1_15Float8_e4m3fnuzELi1EEEvPT0_PKT_iS8_PKffii
	.globl	_ZN4vllm32rms_norm_static_fp8_quant_kernelIN3c108BFloat16ENS1_15Float8_e4m3fnuzELi1EEEvPT0_PKT_iS8_PKffii
	.p2align	8
	.type	_ZN4vllm32rms_norm_static_fp8_quant_kernelIN3c108BFloat16ENS1_15Float8_e4m3fnuzELi1EEEvPT0_PKT_iS8_PKffii,@function
_ZN4vllm32rms_norm_static_fp8_quant_kernelIN3c108BFloat16ENS1_15Float8_e4m3fnuzELi1EEEvPT0_PKT_iS8_PKffii: ; @_ZN4vllm32rms_norm_static_fp8_quant_kernelIN3c108BFloat16ENS1_15Float8_e4m3fnuzELi1EEEvPT0_PKT_iS8_PKffii
; %bb.0:
	s_clause 0x3
	s_load_b32 s2, s[0:1], 0x10
	s_load_b64 s[4:5], s[0:1], 0x8
	s_load_b32 s11, s[0:1], 0x44
	s_load_b32 s8, s[0:1], 0x30
	s_mov_b32 s3, 0
	s_waitcnt lgkmcnt(0)
	s_mul_i32 s2, s15, s2
	s_delay_alu instid0(SALU_CYCLE_1) | instskip(NEXT) | instid1(SALU_CYCLE_1)
	s_lshl_b64 s[6:7], s[2:3], 1
	s_add_u32 s9, s4, s6
	s_addc_u32 s10, s5, s7
	s_and_b32 s11, s11, 0xffff
	s_bitcmp1_b32 s9, 0
	s_cselect_b32 s2, -1, 0
	s_delay_alu instid0(SALU_CYCLE_1)
	s_and_b32 vcc_lo, exec_lo, s2
	s_cbranch_vccz .LBB29_6
; %bb.1:
	v_mov_b32_e32 v3, 0
	s_min_i32 s2, s8, 0
	s_mov_b32 s12, exec_lo
	s_sub_i32 s13, s8, s2
	s_delay_alu instid0(SALU_CYCLE_1)
	v_cmpx_gt_i32_e64 s13, v0
	s_cbranch_execz .LBB29_5
; %bb.2:
	s_ashr_i32 s3, s2, 31
	v_dual_mov_b32 v4, v0 :: v_dual_lshlrev_b32 v1, 1, v0
	s_lshl_b64 s[2:3], s[2:3], 1
	s_add_u32 s14, s4, s6
	s_addc_u32 s16, s5, s7
	s_add_u32 s2, s14, s2
	s_addc_u32 s3, s16, s3
	v_add_co_u32 v1, s2, s2, v1
	s_delay_alu instid0(VALU_DEP_1)
	v_add_co_ci_u32_e64 v2, null, s3, 0, s2
	v_mov_b32_e32 v3, 0
	s_mov_b32 s3, 0
	s_lshl_b32 s14, s11, 1
.LBB29_3:                               ; =>This Inner Loop Header: Depth=1
	global_load_u16 v5, v[1:2], off
	v_add_co_u32 v1, vcc_lo, v1, s14
	v_add_co_ci_u32_e32 v2, vcc_lo, 0, v2, vcc_lo
	s_waitcnt vmcnt(0)
	v_lshlrev_b32_e32 v5, 16, v5
	s_delay_alu instid0(VALU_DEP_1) | instskip(NEXT) | instid1(VALU_DEP_1)
	v_dual_fmac_f32 v3, v5, v5 :: v_dual_add_nc_u32 v4, s11, v4
	v_cmp_le_i32_e64 s2, s13, v4
	s_delay_alu instid0(VALU_DEP_1) | instskip(NEXT) | instid1(SALU_CYCLE_1)
	s_or_b32 s3, s2, s3
	s_and_not1_b32 exec_lo, exec_lo, s3
	s_cbranch_execnz .LBB29_3
; %bb.4:
	s_or_b32 exec_lo, exec_lo, s3
.LBB29_5:
	s_delay_alu instid0(SALU_CYCLE_1)
	s_or_b32 exec_lo, exec_lo, s12
	v_cmp_gt_i32_e64 s2, s8, v0
	s_cbranch_execz .LBB29_7
	s_branch .LBB29_12
.LBB29_6:
                                        ; implicit-def: $vgpr3
	v_cmp_gt_i32_e64 s2, s8, v0
.LBB29_7:
	v_mov_b32_e32 v3, 0
	s_delay_alu instid0(VALU_DEP_2)
	s_and_saveexec_b32 s3, s2
	s_cbranch_execz .LBB29_11
; %bb.8:
	v_dual_mov_b32 v4, v0 :: v_dual_lshlrev_b32 v1, 1, v0
	s_add_u32 s2, s4, s6
	s_addc_u32 s4, s5, s7
	v_mov_b32_e32 v3, 0
	s_delay_alu instid0(VALU_DEP_2) | instskip(NEXT) | instid1(VALU_DEP_1)
	v_add_co_u32 v1, s2, s2, v1
	v_add_co_ci_u32_e64 v2, null, s4, 0, s2
	s_mov_b32 s4, 0
	s_lshl_b32 s5, s11, 1
.LBB29_9:                               ; =>This Inner Loop Header: Depth=1
	global_load_u16 v5, v[1:2], off
	v_add_co_u32 v1, vcc_lo, v1, s5
	v_add_co_ci_u32_e32 v2, vcc_lo, 0, v2, vcc_lo
	s_waitcnt vmcnt(0)
	v_lshlrev_b32_e32 v5, 16, v5
	s_delay_alu instid0(VALU_DEP_1) | instskip(NEXT) | instid1(VALU_DEP_1)
	v_dual_fmac_f32 v3, v5, v5 :: v_dual_add_nc_u32 v4, s11, v4
	v_cmp_le_i32_e64 s2, s8, v4
	s_delay_alu instid0(VALU_DEP_1) | instskip(NEXT) | instid1(SALU_CYCLE_1)
	s_or_b32 s4, s2, s4
	s_and_not1_b32 exec_lo, exec_lo, s4
	s_cbranch_execnz .LBB29_9
; %bb.10:
	s_or_b32 exec_lo, exec_lo, s4
.LBB29_11:
	s_delay_alu instid0(SALU_CYCLE_1)
	s_or_b32 exec_lo, exec_lo, s3
.LBB29_12:
	v_mbcnt_lo_u32_b32 v1, -1, 0
	s_mov_b32 s2, exec_lo
	s_delay_alu instid0(VALU_DEP_1) | instskip(SKIP_2) | instid1(VALU_DEP_2)
	v_cmp_ne_u32_e32 vcc_lo, 31, v1
	v_add_co_ci_u32_e32 v2, vcc_lo, 0, v1, vcc_lo
	v_cmp_gt_u32_e32 vcc_lo, 30, v1
	v_lshlrev_b32_e32 v2, 2, v2
	v_cndmask_b32_e64 v6, 0, 1, vcc_lo
	ds_bpermute_b32 v5, v2, v3
	s_waitcnt lgkmcnt(0)
	v_dual_add_f32 v7, v3, v5 :: v_dual_and_b32 v4, 0x3e0, v0
	s_delay_alu instid0(VALU_DEP_1) | instskip(SKIP_1) | instid1(VALU_DEP_1)
	v_sub_nc_u32_e64 v12, s11, v4 clamp
	v_add_nc_u32_e32 v4, 1, v1
	v_cmp_lt_u32_e32 vcc_lo, v4, v12
	s_delay_alu instid0(VALU_DEP_4) | instskip(SKIP_2) | instid1(VALU_DEP_1)
	v_cndmask_b32_e32 v7, v3, v7, vcc_lo
	v_cmp_gt_u32_e32 vcc_lo, 28, v1
	v_cndmask_b32_e64 v3, 0, 1, vcc_lo
	v_lshlrev_b32_e32 v8, 2, v3
	v_add_nc_u32_e32 v3, 2, v1
	s_delay_alu instid0(VALU_DEP_1) | instskip(SKIP_1) | instid1(VALU_DEP_1)
	v_cmp_lt_u32_e32 vcc_lo, v3, v12
	v_lshlrev_b32_e32 v6, 1, v6
	v_add_lshl_u32 v5, v6, v1, 2
	ds_bpermute_b32 v6, v5, v7
	s_waitcnt lgkmcnt(0)
	v_add_f32_e32 v9, v7, v6
	v_add_lshl_u32 v6, v8, v1, 2
	s_delay_alu instid0(VALU_DEP_2) | instskip(SKIP_3) | instid1(VALU_DEP_1)
	v_cndmask_b32_e32 v9, v7, v9, vcc_lo
	v_cmp_gt_u32_e32 vcc_lo, 24, v1
	ds_bpermute_b32 v8, v6, v9
	v_cndmask_b32_e64 v7, 0, 1, vcc_lo
	v_lshlrev_b32_e32 v10, 3, v7
	v_add_nc_u32_e32 v7, 4, v1
	s_delay_alu instid0(VALU_DEP_1) | instskip(SKIP_3) | instid1(VALU_DEP_2)
	v_cmp_lt_u32_e32 vcc_lo, v7, v12
	s_waitcnt lgkmcnt(0)
	v_add_f32_e32 v11, v9, v8
	v_add_lshl_u32 v8, v10, v1, 2
	v_cndmask_b32_e32 v11, v9, v11, vcc_lo
	v_cmp_gt_u32_e32 vcc_lo, 16, v1
	ds_bpermute_b32 v10, v8, v11
	v_cndmask_b32_e64 v9, 0, 1, vcc_lo
	s_delay_alu instid0(VALU_DEP_1) | instskip(SKIP_1) | instid1(VALU_DEP_1)
	v_lshlrev_b32_e32 v13, 4, v9
	v_add_nc_u32_e32 v9, 8, v1
	v_cmp_lt_u32_e32 vcc_lo, v9, v12
	s_waitcnt lgkmcnt(0)
	v_add_f32_e32 v14, v11, v10
	v_add_lshl_u32 v10, v13, v1, 2
	s_delay_alu instid0(VALU_DEP_2)
	v_cndmask_b32_e32 v13, v11, v14, vcc_lo
	v_add_nc_u32_e32 v11, 16, v1
	ds_bpermute_b32 v14, v10, v13
	v_cmp_lt_u32_e32 vcc_lo, v11, v12
	s_waitcnt lgkmcnt(0)
	v_add_f32_e32 v14, v13, v14
	s_delay_alu instid0(VALU_DEP_1)
	v_cndmask_b32_e32 v12, v13, v14, vcc_lo
	v_cmpx_eq_u32_e32 0, v1
	s_cbranch_execz .LBB29_14
; %bb.13:
	v_lshrrev_b32_e32 v13, 3, v0
	s_delay_alu instid0(VALU_DEP_1)
	v_and_b32_e32 v13, 0x7c, v13
	ds_store_b32 v13, v12
.LBB29_14:
	s_or_b32 exec_lo, exec_lo, s2
	s_delay_alu instid0(SALU_CYCLE_1)
	s_mov_b32 s2, exec_lo
	s_waitcnt lgkmcnt(0)
	s_barrier
	buffer_gl0_inv
	v_cmpx_gt_u32_e32 32, v0
	s_cbranch_execz .LBB29_16
; %bb.15:
	v_lshlrev_b32_e32 v1, 2, v1
	s_add_i32 s3, s11, 31
	s_delay_alu instid0(SALU_CYCLE_1) | instskip(NEXT) | instid1(SALU_CYCLE_1)
	s_lshr_b32 s3, s3, 5
	v_cmp_gt_u32_e32 vcc_lo, s3, v4
	ds_load_b32 v1, v1
	s_waitcnt lgkmcnt(0)
	ds_bpermute_b32 v2, v2, v1
	s_waitcnt lgkmcnt(0)
	v_add_f32_e32 v2, v1, v2
	s_delay_alu instid0(VALU_DEP_1) | instskip(SKIP_4) | instid1(VALU_DEP_1)
	v_cndmask_b32_e32 v1, v1, v2, vcc_lo
	v_cmp_gt_u32_e32 vcc_lo, s3, v3
	ds_bpermute_b32 v2, v5, v1
	s_waitcnt lgkmcnt(0)
	v_add_f32_e32 v2, v1, v2
	v_cndmask_b32_e32 v1, v1, v2, vcc_lo
	v_cmp_gt_u32_e32 vcc_lo, s3, v7
	ds_bpermute_b32 v2, v6, v1
	s_waitcnt lgkmcnt(0)
	v_add_f32_e32 v2, v1, v2
	s_delay_alu instid0(VALU_DEP_1) | instskip(SKIP_4) | instid1(VALU_DEP_1)
	v_cndmask_b32_e32 v1, v1, v2, vcc_lo
	v_cmp_gt_u32_e32 vcc_lo, s3, v9
	ds_bpermute_b32 v2, v8, v1
	s_waitcnt lgkmcnt(0)
	v_add_f32_e32 v2, v1, v2
	v_cndmask_b32_e32 v1, v1, v2, vcc_lo
	v_cmp_gt_u32_e32 vcc_lo, s3, v11
	ds_bpermute_b32 v2, v10, v1
	s_waitcnt lgkmcnt(0)
	v_add_f32_e32 v2, v1, v2
	s_delay_alu instid0(VALU_DEP_1)
	v_cndmask_b32_e32 v12, v1, v2, vcc_lo
.LBB29_16:
	s_or_b32 exec_lo, exec_lo, s2
	s_delay_alu instid0(SALU_CYCLE_1)
	s_mov_b32 s2, exec_lo
	v_cmpx_eq_u32_e32 0, v0
	s_cbranch_execz .LBB29_18
; %bb.17:
	v_cvt_f32_i32_e32 v1, s8
	s_load_b32 s3, s[0:1], 0x28
	s_delay_alu instid0(VALU_DEP_1) | instskip(SKIP_1) | instid1(VALU_DEP_2)
	v_div_scale_f32 v2, null, v1, v1, v12
	v_div_scale_f32 v5, vcc_lo, v12, v1, v12
	v_rcp_f32_e32 v3, v2
	s_waitcnt_depctr 0xfff
	v_fma_f32 v4, -v2, v3, 1.0
	s_delay_alu instid0(VALU_DEP_1) | instskip(NEXT) | instid1(VALU_DEP_1)
	v_fmac_f32_e32 v3, v4, v3
	v_mul_f32_e32 v4, v5, v3
	s_delay_alu instid0(VALU_DEP_1) | instskip(NEXT) | instid1(VALU_DEP_1)
	v_fma_f32 v6, -v2, v4, v5
	v_fmac_f32_e32 v4, v6, v3
	s_delay_alu instid0(VALU_DEP_1) | instskip(NEXT) | instid1(VALU_DEP_1)
	v_fma_f32 v2, -v2, v4, v5
	v_div_fmas_f32 v2, v2, v3, v4
	s_delay_alu instid0(VALU_DEP_1) | instskip(SKIP_1) | instid1(VALU_DEP_1)
	v_div_fixup_f32 v1, v2, v1, v12
	s_waitcnt lgkmcnt(0)
	v_add_f32_e32 v1, s3, v1
	s_delay_alu instid0(VALU_DEP_1) | instskip(SKIP_1) | instid1(VALU_DEP_2)
	v_mul_f32_e32 v2, 0x4b800000, v1
	v_cmp_gt_f32_e32 vcc_lo, 0x800000, v1
	v_cndmask_b32_e32 v1, v1, v2, vcc_lo
	s_delay_alu instid0(VALU_DEP_1) | instskip(SKIP_2) | instid1(VALU_DEP_1)
	v_rsq_f32_e32 v1, v1
	s_waitcnt_depctr 0xfff
	v_mul_f32_e32 v2, 0x45800000, v1
	v_dual_cndmask_b32 v1, v1, v2 :: v_dual_mov_b32 v2, 0
	ds_store_b32 v2, v1 offset:128
.LBB29_18:
	s_or_b32 exec_lo, exec_lo, s2
	s_waitcnt lgkmcnt(0)
	s_barrier
	buffer_gl0_inv
	s_mov_b32 s2, exec_lo
	v_cmpx_gt_i32_e64 s8, v0
	s_cbranch_execz .LBB29_31
; %bb.19:
	s_clause 0x1
	s_load_b128 s[4:7], s[0:1], 0x18
	s_load_b64 s[2:3], s[0:1], 0x0
	s_mul_i32 s15, s15, s8
	s_waitcnt lgkmcnt(0)
	s_load_b32 s6, s[6:7], 0x0
	s_mov_b32 s7, 0x43600000
	s_waitcnt lgkmcnt(0)
	v_div_scale_f32 v1, null, s6, s6, 1.0
	v_div_scale_f32 v4, vcc_lo, 1.0, s6, 1.0
	s_delay_alu instid0(VALU_DEP_2) | instskip(SKIP_2) | instid1(VALU_DEP_1)
	v_rcp_f32_e32 v3, v1
	s_waitcnt_depctr 0xfff
	v_fma_f32 v2, -v1, v3, 1.0
	v_dual_fmac_f32 v3, v2, v3 :: v_dual_mov_b32 v2, 0
	s_delay_alu instid0(VALU_DEP_1) | instskip(NEXT) | instid1(VALU_DEP_1)
	v_mul_f32_e32 v6, v4, v3
	v_fma_f32 v5, -v1, v6, v4
	s_delay_alu instid0(VALU_DEP_1) | instskip(SKIP_2) | instid1(VALU_DEP_1)
	v_fmac_f32_e32 v6, v5, v3
	ds_load_b32 v5, v2 offset:128
	v_fma_f32 v1, -v1, v6, v4
	v_div_fmas_f32 v1, v1, v3, v6
	s_delay_alu instid0(VALU_DEP_1)
	v_div_fixup_f32 v6, v1, s6, 1.0
	s_mov_b32 s6, 0
	s_branch .LBB29_24
.LBB29_20:                              ;   in Loop: Header=BB29_24 Depth=1
	s_or_b32 exec_lo, exec_lo, s0
	s_delay_alu instid0(VALU_DEP_2) | instskip(NEXT) | instid1(VALU_DEP_2)
	v_lshrrev_b64 v[3:4], 20, v[3:4]
	v_cmp_gt_i32_e32 vcc_lo, 16, v1
	v_and_b32_e32 v7, 0x80, v7
	v_min_i32_e32 v8, 15, v1
	v_cmp_eq_u32_e64 s0, 0, v1
	v_dual_cndmask_b32 v4, 0, v4 :: v_dual_cndmask_b32 v3, 7, v3
	s_delay_alu instid0(VALU_DEP_3) | instskip(NEXT) | instid1(VALU_DEP_2)
	v_lshl_or_b32 v7, v8, 3, v7
	v_cmp_eq_u64_e32 vcc_lo, 0, v[3:4]
	s_delay_alu instid0(VALU_DEP_2)
	v_and_or_b32 v1, v3, 7, v7
	s_and_b32 s0, s0, vcc_lo
	s_delay_alu instid0(VALU_DEP_1) | instid1(SALU_CYCLE_1)
	v_cndmask_b32_e64 v3, v1, 0, s0
.LBB29_21:                              ;   in Loop: Header=BB29_24 Depth=1
	s_or_b32 exec_lo, exec_lo, s14
.LBB29_22:                              ;   in Loop: Header=BB29_24 Depth=1
	s_and_not1_saveexec_b32 s0, s13
	s_delay_alu instid0(SALU_CYCLE_1)
	s_or_b32 exec_lo, exec_lo, s0
.LBB29_23:                              ;   in Loop: Header=BB29_24 Depth=1
	s_and_not1_saveexec_b32 s0, s12
	s_delay_alu instid0(SALU_CYCLE_1)
	s_or_b32 exec_lo, exec_lo, s0
	v_add_nc_u32_e32 v1, s15, v0
	v_add_nc_u32_e32 v0, s11, v0
	global_store_b8 v1, v3, s[2:3]
	v_cmp_le_i32_e32 vcc_lo, s8, v0
	s_or_b32 s6, vcc_lo, s6
	s_delay_alu instid0(SALU_CYCLE_1)
	s_and_not1_b32 exec_lo, exec_lo, s6
	s_cbranch_execz .LBB29_31
.LBB29_24:                              ; =>This Inner Loop Header: Depth=1
	v_ashrrev_i32_e32 v1, 31, v0
	s_mov_b32 s0, exec_lo
	s_delay_alu instid0(VALU_DEP_1) | instskip(NEXT) | instid1(VALU_DEP_1)
	v_lshlrev_b64 v[3:4], 1, v[0:1]
	v_add_co_u32 v7, vcc_lo, s9, v3
	s_delay_alu instid0(VALU_DEP_2)
	v_add_co_ci_u32_e32 v8, vcc_lo, s10, v4, vcc_lo
	v_add_co_u32 v3, vcc_lo, s4, v3
	v_add_co_ci_u32_e32 v4, vcc_lo, s5, v4, vcc_lo
	global_load_u16 v1, v[7:8], off
	global_load_u16 v3, v[3:4], off
	s_waitcnt vmcnt(1)
	v_lshlrev_b32_e32 v1, 16, v1
	s_waitcnt vmcnt(0)
	v_lshlrev_b32_e32 v3, 16, v3
	s_waitcnt lgkmcnt(0)
	s_delay_alu instid0(VALU_DEP_2) | instskip(NEXT) | instid1(VALU_DEP_1)
	v_mul_f32_e32 v1, v5, v1
	v_bfe_u32 v4, v1, 16, 1
	s_delay_alu instid0(VALU_DEP_1) | instskip(NEXT) | instid1(VALU_DEP_1)
	v_add3_u32 v4, v1, v4, 0x7fff
	v_and_b32_e32 v4, 0xffff0000, v4
	v_cmp_o_f32_e32 vcc_lo, v1, v1
	s_delay_alu instid0(VALU_DEP_2) | instskip(NEXT) | instid1(VALU_DEP_1)
	v_cndmask_b32_e32 v1, 0x7fc00000, v4, vcc_lo
	v_mul_f32_e32 v1, v1, v3
	s_delay_alu instid0(VALU_DEP_1) | instskip(SKIP_1) | instid1(VALU_DEP_2)
	v_bfe_u32 v3, v1, 16, 1
	v_cmp_o_f32_e32 vcc_lo, v1, v1
	v_add3_u32 v3, v1, v3, 0x7fff
	s_delay_alu instid0(VALU_DEP_1) | instskip(NEXT) | instid1(VALU_DEP_1)
	v_and_b32_e32 v3, 0xffff0000, v3
	v_cndmask_b32_e32 v1, 0x7fc00000, v3, vcc_lo
	s_delay_alu instid0(VALU_DEP_1) | instskip(NEXT) | instid1(VALU_DEP_1)
	v_mul_f32_e32 v1, v6, v1
	v_minmax_f32 v4, v1, s7, 0xc3600000
	s_delay_alu instid0(VALU_DEP_1) | instskip(SKIP_1) | instid1(VALU_DEP_2)
	v_lshrrev_b32_e32 v7, 24, v4
	v_and_b32_e32 v1, 0x7f800000, v4
	v_or_b32_e32 v3, 0x7f, v7
	s_delay_alu instid0(VALU_DEP_2)
	v_cmpx_ne_u64_e32 0x7f800000, v[1:2]
	s_xor_b32 s12, exec_lo, s0
	s_cbranch_execz .LBB29_23
; %bb.25:                               ;   in Loop: Header=BB29_24 Depth=1
	v_and_b32_e32 v1, 0x7fffffff, v4
	s_mov_b32 s0, exec_lo
	s_delay_alu instid0(VALU_DEP_1)
	v_cmpx_gt_u64_e32 0x43700001, v[1:2]
	s_xor_b32 s13, exec_lo, s0
	s_cbranch_execz .LBB29_22
; %bb.26:                               ;   in Loop: Header=BB29_24 Depth=1
	v_mov_b32_e32 v3, 0
	s_mov_b32 s14, exec_lo
	v_cmpx_ne_u32_e32 0, v4
	s_cbranch_execz .LBB29_21
; %bb.27:                               ;   in Loop: Header=BB29_24 Depth=1
	v_bfe_u32 v12, v4, 23, 8
	v_and_b32_e32 v3, 0x7fffff, v4
	s_delay_alu instid0(VALU_DEP_2) | instskip(SKIP_2) | instid1(VALU_DEP_3)
	v_sub_nc_u32_e64 v1, 0x78, v12 clamp
	v_cmp_eq_u32_e32 vcc_lo, 0, v12
	v_add_nc_u32_e32 v12, 0xffffff89, v12
	v_cndmask_b32_e64 v13, v1, 0x77, vcc_lo
	v_or_b32_e32 v1, 0x800000, v3
	s_delay_alu instid0(VALU_DEP_1) | instskip(SKIP_1) | instid1(VALU_DEP_2)
	v_dual_cndmask_b32 v1, v1, v3 :: v_dual_add_nc_u32 v4, 20, v13
	v_add_nc_u32_e32 v8, 19, v13
	v_lshlrev_b64 v[3:4], v4, -1
	s_delay_alu instid0(VALU_DEP_3) | instskip(NEXT) | instid1(VALU_DEP_3)
	v_lshrrev_b64 v[10:11], v13, v[1:2]
	v_lshlrev_b64 v[8:9], v8, 1
	v_mov_b32_e32 v4, v2
	s_delay_alu instid0(VALU_DEP_4) | instskip(NEXT) | instid1(VALU_DEP_1)
	v_not_b32_e32 v3, v3
	v_and_b32_e32 v3, v1, v3
	v_and_b32_e32 v1, 0x100000, v10
	s_delay_alu instid0(VALU_DEP_2) | instskip(NEXT) | instid1(VALU_DEP_2)
	v_cmp_eq_u64_e64 s0, v[3:4], v[8:9]
	v_cmp_eq_u64_e64 s1, 0, v[1:2]
	v_cndmask_b32_e64 v1, v12, 0xffffff8a, vcc_lo
	v_lshrrev_b32_e32 v3, 23, v10
	s_delay_alu instid0(VALU_DEP_3) | instskip(NEXT) | instid1(VALU_DEP_1)
	s_and_b32 vcc_lo, s1, s0
	v_add3_u32 v8, v1, v13, v3
	v_subrev_co_ci_u32_e32 v4, vcc_lo, 0, v10, vcc_lo
	s_mov_b32 s0, exec_lo
	s_delay_alu instid0(VALU_DEP_2) | instskip(NEXT) | instid1(VALU_DEP_2)
	v_add_nc_u32_e32 v9, -1, v8
	v_and_b32_e32 v1, 0xfffff, v4
	s_delay_alu instid0(VALU_DEP_1) | instskip(SKIP_1) | instid1(VALU_DEP_4)
	v_add_co_u32 v3, vcc_lo, v1, v10
	v_add_co_ci_u32_e32 v4, vcc_lo, 0, v11, vcc_lo
                                        ; implicit-def: $vgpr1
	v_cmpx_ne_u32_e32 0, v9
	s_xor_b32 s0, exec_lo, s0
; %bb.28:                               ;   in Loop: Header=BB29_24 Depth=1
	s_delay_alu instid0(VALU_DEP_3) | instskip(SKIP_1) | instid1(VALU_DEP_2)
	v_and_b32_e32 v1, 0x1000000, v3
	v_bfe_u32 v10, v3, 24, 1
	v_cmp_eq_u64_e32 vcc_lo, 0, v[1:2]
	s_delay_alu instid0(VALU_DEP_2)
	v_lshrrev_b64 v[3:4], v10, v[3:4]
	v_cndmask_b32_e32 v1, v8, v9, vcc_lo
; %bb.29:                               ;   in Loop: Header=BB29_24 Depth=1
	s_and_not1_saveexec_b32 s0, s0
	s_cbranch_execz .LBB29_20
; %bb.30:                               ;   in Loop: Header=BB29_24 Depth=1
	s_delay_alu instid0(VALU_DEP_2)
	v_bfe_u32 v1, v3, 23, 1
	s_branch .LBB29_20
.LBB29_31:
	s_nop 0
	s_sendmsg sendmsg(MSG_DEALLOC_VGPRS)
	s_endpgm
	.section	.rodata,"a",@progbits
	.p2align	6, 0x0
	.amdhsa_kernel _ZN4vllm32rms_norm_static_fp8_quant_kernelIN3c108BFloat16ENS1_15Float8_e4m3fnuzELi1EEEvPT0_PKT_iS8_PKffii
		.amdhsa_group_segment_fixed_size 132
		.amdhsa_private_segment_fixed_size 0
		.amdhsa_kernarg_size 312
		.amdhsa_user_sgpr_count 15
		.amdhsa_user_sgpr_dispatch_ptr 0
		.amdhsa_user_sgpr_queue_ptr 0
		.amdhsa_user_sgpr_kernarg_segment_ptr 1
		.amdhsa_user_sgpr_dispatch_id 0
		.amdhsa_user_sgpr_private_segment_size 0
		.amdhsa_wavefront_size32 1
		.amdhsa_uses_dynamic_stack 0
		.amdhsa_enable_private_segment 0
		.amdhsa_system_sgpr_workgroup_id_x 1
		.amdhsa_system_sgpr_workgroup_id_y 0
		.amdhsa_system_sgpr_workgroup_id_z 0
		.amdhsa_system_sgpr_workgroup_info 0
		.amdhsa_system_vgpr_workitem_id 0
		.amdhsa_next_free_vgpr 15
		.amdhsa_next_free_sgpr 17
		.amdhsa_reserve_vcc 1
		.amdhsa_float_round_mode_32 0
		.amdhsa_float_round_mode_16_64 0
		.amdhsa_float_denorm_mode_32 3
		.amdhsa_float_denorm_mode_16_64 3
		.amdhsa_dx10_clamp 1
		.amdhsa_ieee_mode 1
		.amdhsa_fp16_overflow 0
		.amdhsa_workgroup_processor_mode 1
		.amdhsa_memory_ordered 1
		.amdhsa_forward_progress 0
		.amdhsa_shared_vgpr_count 0
		.amdhsa_exception_fp_ieee_invalid_op 0
		.amdhsa_exception_fp_denorm_src 0
		.amdhsa_exception_fp_ieee_div_zero 0
		.amdhsa_exception_fp_ieee_overflow 0
		.amdhsa_exception_fp_ieee_underflow 0
		.amdhsa_exception_fp_ieee_inexact 0
		.amdhsa_exception_int_div_zero 0
	.end_amdhsa_kernel
	.section	.text._ZN4vllm32rms_norm_static_fp8_quant_kernelIN3c108BFloat16ENS1_15Float8_e4m3fnuzELi1EEEvPT0_PKT_iS8_PKffii,"axG",@progbits,_ZN4vllm32rms_norm_static_fp8_quant_kernelIN3c108BFloat16ENS1_15Float8_e4m3fnuzELi1EEEvPT0_PKT_iS8_PKffii,comdat
.Lfunc_end29:
	.size	_ZN4vllm32rms_norm_static_fp8_quant_kernelIN3c108BFloat16ENS1_15Float8_e4m3fnuzELi1EEEvPT0_PKT_iS8_PKffii, .Lfunc_end29-_ZN4vllm32rms_norm_static_fp8_quant_kernelIN3c108BFloat16ENS1_15Float8_e4m3fnuzELi1EEEvPT0_PKT_iS8_PKffii
                                        ; -- End function
	.section	.AMDGPU.csdata,"",@progbits
; Kernel info:
; codeLenInByte = 2128
; NumSgprs: 19
; NumVgprs: 15
; ScratchSize: 0
; MemoryBound: 0
; FloatMode: 240
; IeeeMode: 1
; LDSByteSize: 132 bytes/workgroup (compile time only)
; SGPRBlocks: 2
; VGPRBlocks: 1
; NumSGPRsForWavesPerEU: 19
; NumVGPRsForWavesPerEU: 15
; Occupancy: 16
; WaveLimiterHint : 0
; COMPUTE_PGM_RSRC2:SCRATCH_EN: 0
; COMPUTE_PGM_RSRC2:USER_SGPR: 15
; COMPUTE_PGM_RSRC2:TRAP_HANDLER: 0
; COMPUTE_PGM_RSRC2:TGID_X_EN: 1
; COMPUTE_PGM_RSRC2:TGID_Y_EN: 0
; COMPUTE_PGM_RSRC2:TGID_Z_EN: 0
; COMPUTE_PGM_RSRC2:TIDIG_COMP_CNT: 0
	.section	.text._ZN4vllm42fused_add_rms_norm_static_fp8_quant_kernelIfLi8EN3c1013Float8_e4m3fnEEENSt9enable_ifIXaagtT0_Li0Esr12_typeConvertIT_EE6existsEvE4typeEPT1_PS4_iS9_PKS4_PKffii,"axG",@progbits,_ZN4vllm42fused_add_rms_norm_static_fp8_quant_kernelIfLi8EN3c1013Float8_e4m3fnEEENSt9enable_ifIXaagtT0_Li0Esr12_typeConvertIT_EE6existsEvE4typeEPT1_PS4_iS9_PKS4_PKffii,comdat
	.protected	_ZN4vllm42fused_add_rms_norm_static_fp8_quant_kernelIfLi8EN3c1013Float8_e4m3fnEEENSt9enable_ifIXaagtT0_Li0Esr12_typeConvertIT_EE6existsEvE4typeEPT1_PS4_iS9_PKS4_PKffii ; -- Begin function _ZN4vllm42fused_add_rms_norm_static_fp8_quant_kernelIfLi8EN3c1013Float8_e4m3fnEEENSt9enable_ifIXaagtT0_Li0Esr12_typeConvertIT_EE6existsEvE4typeEPT1_PS4_iS9_PKS4_PKffii
	.globl	_ZN4vllm42fused_add_rms_norm_static_fp8_quant_kernelIfLi8EN3c1013Float8_e4m3fnEEENSt9enable_ifIXaagtT0_Li0Esr12_typeConvertIT_EE6existsEvE4typeEPT1_PS4_iS9_PKS4_PKffii
	.p2align	8
	.type	_ZN4vllm42fused_add_rms_norm_static_fp8_quant_kernelIfLi8EN3c1013Float8_e4m3fnEEENSt9enable_ifIXaagtT0_Li0Esr12_typeConvertIT_EE6existsEvE4typeEPT1_PS4_iS9_PKS4_PKffii,@function
_ZN4vllm42fused_add_rms_norm_static_fp8_quant_kernelIfLi8EN3c1013Float8_e4m3fnEEENSt9enable_ifIXaagtT0_Li0Esr12_typeConvertIT_EE6existsEvE4typeEPT1_PS4_iS9_PKS4_PKffii: ; @_ZN4vllm42fused_add_rms_norm_static_fp8_quant_kernelIfLi8EN3c1013Float8_e4m3fnEEENSt9enable_ifIXaagtT0_Li0Esr12_typeConvertIT_EE6existsEvE4typeEPT1_PS4_iS9_PKS4_PKffii
; %bb.0:
	s_clause 0x1
	s_load_b32 s16, s[0:1], 0x38
	s_load_b64 s[8:9], s[0:1], 0x18
	s_mov_b32 s4, exec_lo
                                        ; implicit-def: $sgpr13
                                        ; implicit-def: $sgpr12
	s_waitcnt lgkmcnt(0)
	s_ashr_i32 s2, s16, 31
	s_delay_alu instid0(SALU_CYCLE_1) | instskip(NEXT) | instid1(SALU_CYCLE_1)
	s_lshr_b32 s2, s2, 29
	s_add_i32 s2, s16, s2
	s_delay_alu instid0(SALU_CYCLE_1) | instskip(NEXT) | instid1(SALU_CYCLE_1)
	s_ashr_i32 s3, s2, 3
	v_cmp_gt_i32_e64 s2, s3, v0
	v_cmpx_le_i32_e64 s3, v0
	s_xor_b32 s4, exec_lo, s4
	s_cbranch_execz .LBB30_2
; %bb.1:
	s_load_b32 s5, s[0:1], 0x4c
	s_mov_b32 s13, 0
	s_waitcnt lgkmcnt(0)
	s_and_b32 s12, s5, 0xffff
.LBB30_2:
	s_or_saveexec_b32 s17, s4
	s_clause 0x1
	s_load_b64 s[10:11], s[0:1], 0x0
	s_load_b128 s[4:7], s[0:1], 0x20
	v_mov_b32_e32 v1, s13
	v_mov_b32_e32 v17, s12
	s_mul_i32 s14, s3, s15
	s_xor_b32 exec_lo, exec_lo, s17
	s_cbranch_execz .LBB30_6
; %bb.3:
	s_clause 0x2
	s_load_b32 s18, s[0:1], 0x10
	s_load_b32 s19, s[0:1], 0x4c
	s_load_b64 s[12:13], s[0:1], 0x8
	v_dual_mov_b32 v1, 0 :: v_dual_mov_b32 v2, v0
	s_waitcnt lgkmcnt(0)
	s_ashr_i32 s20, s18, 31
	s_delay_alu instid0(SALU_CYCLE_1) | instskip(NEXT) | instid1(SALU_CYCLE_1)
	s_lshr_b32 s20, s20, 29
	s_add_i32 s18, s18, s20
	s_delay_alu instid0(SALU_CYCLE_1)
	s_ashr_i32 s20, s18, 3
	s_and_b32 s18, s19, 0xffff
	s_mul_i32 s19, s20, s15
	s_mov_b32 s15, 0
.LBB30_4:                               ; =>This Inner Loop Header: Depth=1
	v_add_nc_u32_e32 v3, s19, v2
	v_add_nc_u32_e32 v5, s14, v2
	;; [unrolled: 1-line block ×3, first 2 shown]
	s_delay_alu instid0(VALU_DEP_3) | instskip(NEXT) | instid1(VALU_DEP_3)
	v_ashrrev_i32_e32 v4, 31, v3
	v_ashrrev_i32_e32 v6, 31, v5
	s_delay_alu instid0(VALU_DEP_2) | instskip(NEXT) | instid1(VALU_DEP_2)
	v_lshlrev_b64 v[3:4], 5, v[3:4]
	v_lshlrev_b64 v[5:6], 5, v[5:6]
	s_delay_alu instid0(VALU_DEP_2) | instskip(NEXT) | instid1(VALU_DEP_3)
	v_add_co_u32 v11, vcc_lo, s12, v3
	v_add_co_ci_u32_e32 v12, vcc_lo, s13, v4, vcc_lo
	s_delay_alu instid0(VALU_DEP_3) | instskip(NEXT) | instid1(VALU_DEP_4)
	v_add_co_u32 v19, vcc_lo, s8, v5
	v_add_co_ci_u32_e32 v20, vcc_lo, s9, v6, vcc_lo
	global_load_b128 v[3:6], v[11:12], off
	global_load_b128 v[7:10], v[19:20], off
	global_load_b128 v[11:14], v[11:12], off offset:16
	global_load_b128 v[15:18], v[19:20], off offset:16
	v_cmp_le_i32_e32 vcc_lo, s3, v2
	s_or_b32 s15, vcc_lo, s15
	s_waitcnt vmcnt(2)
	v_add_f32_e32 v4, v4, v8
	v_dual_add_f32 v6, v6, v10 :: v_dual_add_f32 v3, v3, v7
	s_waitcnt vmcnt(0)
	v_dual_add_f32 v5, v5, v9 :: v_dual_add_f32 v8, v12, v16
	s_delay_alu instid0(VALU_DEP_3) | instskip(NEXT) | instid1(VALU_DEP_3)
	v_mul_f32_e32 v12, v4, v4
	v_dual_mul_f32 v16, v6, v6 :: v_dual_add_f32 v7, v11, v15
	s_delay_alu instid0(VALU_DEP_3) | instskip(NEXT) | instid1(VALU_DEP_3)
	v_dual_add_f32 v10, v14, v18 :: v_dual_mul_f32 v11, v8, v8
	v_dual_fmac_f32 v12, v3, v3 :: v_dual_add_f32 v9, v13, v17
	s_delay_alu instid0(VALU_DEP_2) | instskip(NEXT) | instid1(VALU_DEP_3)
	v_dual_fmac_f32 v16, v5, v5 :: v_dual_mul_f32 v13, v10, v10
	v_fmac_f32_e32 v11, v7, v7
	s_clause 0x1
	global_store_b128 v[19:20], v[3:6], off
	global_store_b128 v[19:20], v[7:10], off offset:16
	v_dual_add_f32 v12, v12, v16 :: v_dual_fmac_f32 v13, v9, v9
	s_delay_alu instid0(VALU_DEP_1) | instskip(NEXT) | instid1(VALU_DEP_1)
	v_add_f32_e32 v11, v12, v11
	v_add_f32_e32 v11, v11, v13
	s_delay_alu instid0(VALU_DEP_1)
	v_add_f32_e32 v1, v1, v11
	s_and_not1_b32 exec_lo, exec_lo, s15
	s_cbranch_execnz .LBB30_4
; %bb.5:
	s_or_b32 exec_lo, exec_lo, s15
	v_mov_b32_e32 v17, s18
.LBB30_6:
	s_or_b32 exec_lo, exec_lo, s17
	v_mbcnt_lo_u32_b32 v2, -1, 0
	s_mov_b32 s12, exec_lo
	s_delay_alu instid0(VALU_DEP_1) | instskip(SKIP_2) | instid1(VALU_DEP_2)
	v_cmp_ne_u32_e32 vcc_lo, 31, v2
	v_add_co_ci_u32_e32 v3, vcc_lo, 0, v2, vcc_lo
	v_cmp_gt_u32_e32 vcc_lo, 30, v2
	v_lshlrev_b32_e32 v3, 2, v3
	v_cndmask_b32_e64 v6, 0, 1, vcc_lo
	ds_bpermute_b32 v5, v3, v1
	s_waitcnt lgkmcnt(0)
	v_dual_add_f32 v7, v1, v5 :: v_dual_and_b32 v4, 0x3e0, v0
	s_delay_alu instid0(VALU_DEP_1) | instskip(SKIP_1) | instid1(VALU_DEP_1)
	v_sub_nc_u32_e64 v12, v17, v4 clamp
	v_add_nc_u32_e32 v4, 1, v2
	v_cmp_lt_u32_e32 vcc_lo, v4, v12
	s_delay_alu instid0(VALU_DEP_4) | instskip(NEXT) | instid1(VALU_DEP_1)
	v_dual_cndmask_b32 v7, v1, v7 :: v_dual_lshlrev_b32 v6, 1, v6
	v_add_lshl_u32 v5, v6, v2, 2
	v_cmp_gt_u32_e32 vcc_lo, 28, v2
	ds_bpermute_b32 v6, v5, v7
	v_cndmask_b32_e64 v1, 0, 1, vcc_lo
	s_delay_alu instid0(VALU_DEP_1) | instskip(SKIP_1) | instid1(VALU_DEP_1)
	v_lshlrev_b32_e32 v8, 2, v1
	v_add_nc_u32_e32 v1, 2, v2
	v_cmp_lt_u32_e32 vcc_lo, v1, v12
	s_waitcnt lgkmcnt(0)
	v_add_f32_e32 v9, v7, v6
	v_add_lshl_u32 v6, v8, v2, 2
	s_delay_alu instid0(VALU_DEP_2) | instskip(SKIP_3) | instid1(VALU_DEP_1)
	v_cndmask_b32_e32 v9, v7, v9, vcc_lo
	v_cmp_gt_u32_e32 vcc_lo, 24, v2
	ds_bpermute_b32 v8, v6, v9
	v_cndmask_b32_e64 v7, 0, 1, vcc_lo
	v_lshlrev_b32_e32 v10, 3, v7
	v_add_nc_u32_e32 v7, 4, v2
	s_delay_alu instid0(VALU_DEP_1) | instskip(SKIP_3) | instid1(VALU_DEP_2)
	v_cmp_lt_u32_e32 vcc_lo, v7, v12
	s_waitcnt lgkmcnt(0)
	v_add_f32_e32 v11, v9, v8
	v_add_lshl_u32 v8, v10, v2, 2
	v_cndmask_b32_e32 v11, v9, v11, vcc_lo
	v_cmp_gt_u32_e32 vcc_lo, 16, v2
	ds_bpermute_b32 v10, v8, v11
	v_cndmask_b32_e64 v9, 0, 1, vcc_lo
	s_delay_alu instid0(VALU_DEP_1) | instskip(SKIP_1) | instid1(VALU_DEP_1)
	v_lshlrev_b32_e32 v13, 4, v9
	v_add_nc_u32_e32 v9, 8, v2
	v_cmp_lt_u32_e32 vcc_lo, v9, v12
	s_waitcnt lgkmcnt(0)
	v_add_f32_e32 v14, v11, v10
	v_add_lshl_u32 v10, v13, v2, 2
	s_delay_alu instid0(VALU_DEP_2)
	v_cndmask_b32_e32 v13, v11, v14, vcc_lo
	v_add_nc_u32_e32 v11, 16, v2
	ds_bpermute_b32 v14, v10, v13
	v_cmp_lt_u32_e32 vcc_lo, v11, v12
	s_waitcnt lgkmcnt(0)
	v_add_f32_e32 v14, v13, v14
	s_delay_alu instid0(VALU_DEP_1)
	v_cndmask_b32_e32 v12, v13, v14, vcc_lo
	v_cmpx_eq_u32_e32 0, v2
	s_cbranch_execz .LBB30_8
; %bb.7:
	v_lshrrev_b32_e32 v13, 3, v0
	s_delay_alu instid0(VALU_DEP_1)
	v_and_b32_e32 v13, 0x7c, v13
	ds_store_b32 v13, v12
.LBB30_8:
	s_or_b32 exec_lo, exec_lo, s12
	s_delay_alu instid0(SALU_CYCLE_1)
	s_mov_b32 s12, exec_lo
	s_waitcnt lgkmcnt(0)
	s_waitcnt_vscnt null, 0x0
	s_barrier
	buffer_gl0_inv
	v_cmpx_gt_u32_e32 32, v0
	s_cbranch_execz .LBB30_10
; %bb.9:
	v_lshlrev_b32_e32 v2, 2, v2
	ds_load_b32 v2, v2
	s_waitcnt lgkmcnt(0)
	ds_bpermute_b32 v3, v3, v2
	s_waitcnt lgkmcnt(0)
	v_dual_add_f32 v3, v2, v3 :: v_dual_add_nc_u32 v12, 31, v17
	s_delay_alu instid0(VALU_DEP_1) | instskip(NEXT) | instid1(VALU_DEP_1)
	v_lshrrev_b32_e32 v12, 5, v12
	v_cmp_lt_u32_e32 vcc_lo, v4, v12
	s_delay_alu instid0(VALU_DEP_3) | instskip(SKIP_4) | instid1(VALU_DEP_1)
	v_cndmask_b32_e32 v2, v2, v3, vcc_lo
	v_cmp_lt_u32_e32 vcc_lo, v1, v12
	ds_bpermute_b32 v3, v5, v2
	s_waitcnt lgkmcnt(0)
	v_add_f32_e32 v3, v2, v3
	v_cndmask_b32_e32 v1, v2, v3, vcc_lo
	v_cmp_lt_u32_e32 vcc_lo, v7, v12
	ds_bpermute_b32 v2, v6, v1
	s_waitcnt lgkmcnt(0)
	v_add_f32_e32 v2, v1, v2
	s_delay_alu instid0(VALU_DEP_1) | instskip(SKIP_4) | instid1(VALU_DEP_1)
	v_cndmask_b32_e32 v1, v1, v2, vcc_lo
	v_cmp_lt_u32_e32 vcc_lo, v9, v12
	ds_bpermute_b32 v2, v8, v1
	s_waitcnt lgkmcnt(0)
	v_add_f32_e32 v2, v1, v2
	v_cndmask_b32_e32 v1, v1, v2, vcc_lo
	v_cmp_lt_u32_e32 vcc_lo, v11, v12
	ds_bpermute_b32 v2, v10, v1
	s_waitcnt lgkmcnt(0)
	v_add_f32_e32 v2, v1, v2
	s_delay_alu instid0(VALU_DEP_1)
	v_cndmask_b32_e32 v12, v1, v2, vcc_lo
.LBB30_10:
	s_or_b32 exec_lo, exec_lo, s12
	s_delay_alu instid0(SALU_CYCLE_1)
	s_mov_b32 s12, exec_lo
	v_cmpx_eq_u32_e32 0, v0
	s_cbranch_execz .LBB30_12
; %bb.11:
	v_cvt_f32_i32_e32 v1, s16
	s_load_b32 s0, s[0:1], 0x30
	s_delay_alu instid0(VALU_DEP_1) | instskip(SKIP_1) | instid1(VALU_DEP_2)
	v_div_scale_f32 v2, null, v1, v1, v12
	v_div_scale_f32 v5, vcc_lo, v12, v1, v12
	v_rcp_f32_e32 v3, v2
	s_waitcnt_depctr 0xfff
	v_fma_f32 v4, -v2, v3, 1.0
	s_delay_alu instid0(VALU_DEP_1) | instskip(NEXT) | instid1(VALU_DEP_1)
	v_fmac_f32_e32 v3, v4, v3
	v_mul_f32_e32 v4, v5, v3
	s_delay_alu instid0(VALU_DEP_1) | instskip(NEXT) | instid1(VALU_DEP_1)
	v_fma_f32 v6, -v2, v4, v5
	v_fmac_f32_e32 v4, v6, v3
	s_delay_alu instid0(VALU_DEP_1) | instskip(NEXT) | instid1(VALU_DEP_1)
	v_fma_f32 v2, -v2, v4, v5
	v_div_fmas_f32 v2, v2, v3, v4
	s_delay_alu instid0(VALU_DEP_1) | instskip(SKIP_1) | instid1(VALU_DEP_1)
	v_div_fixup_f32 v1, v2, v1, v12
	s_waitcnt lgkmcnt(0)
	v_add_f32_e32 v1, s0, v1
	s_delay_alu instid0(VALU_DEP_1) | instskip(SKIP_1) | instid1(VALU_DEP_2)
	v_mul_f32_e32 v2, 0x4b800000, v1
	v_cmp_gt_f32_e32 vcc_lo, 0x800000, v1
	v_cndmask_b32_e32 v1, v1, v2, vcc_lo
	s_delay_alu instid0(VALU_DEP_1) | instskip(SKIP_2) | instid1(VALU_DEP_1)
	v_rsq_f32_e32 v1, v1
	s_waitcnt_depctr 0xfff
	v_mul_f32_e32 v2, 0x45800000, v1
	v_dual_cndmask_b32 v1, v1, v2 :: v_dual_mov_b32 v2, 0
	ds_store_b32 v2, v1 offset:128
.LBB30_12:
	s_or_b32 exec_lo, exec_lo, s12
	s_waitcnt lgkmcnt(0)
	s_barrier
	buffer_gl0_inv
	s_and_saveexec_b32 s0, s2
	s_cbranch_execz .LBB30_143
; %bb.13:
	s_load_b32 s0, s[6:7], 0x0
	v_add_lshl_u32 v26, v0, s14, 3
	v_lshlrev_b32_e32 v27, 3, v17
	s_mov_b32 s2, 0
	v_mov_b32_e32 v19, 0
	ds_load_b32 v28, v19 offset:128
	v_mov_b32_e32 v18, v19
	s_delay_alu instid0(VALU_DEP_1) | instskip(SKIP_3) | instid1(VALU_DEP_2)
	v_lshlrev_b64 v[20:21], 5, v[17:18]
	s_waitcnt lgkmcnt(0)
	v_div_scale_f32 v1, null, s0, s0, 1.0
	v_div_scale_f32 v4, vcc_lo, 1.0, s0, 1.0
	v_rcp_f32_e32 v2, v1
	s_waitcnt_depctr 0xfff
	v_fma_f32 v3, -v1, v2, 1.0
	s_delay_alu instid0(VALU_DEP_1) | instskip(NEXT) | instid1(VALU_DEP_1)
	v_fmac_f32_e32 v2, v3, v2
	v_mul_f32_e32 v3, v4, v2
	s_delay_alu instid0(VALU_DEP_1) | instskip(NEXT) | instid1(VALU_DEP_1)
	v_fma_f32 v5, -v1, v3, v4
	v_fmac_f32_e32 v3, v5, v2
	s_delay_alu instid0(VALU_DEP_1) | instskip(SKIP_1) | instid1(VALU_DEP_2)
	v_fma_f32 v1, -v1, v3, v4
	v_lshlrev_b32_e32 v4, 5, v0
	v_div_fmas_f32 v1, v1, v2, v3
	s_delay_alu instid0(VALU_DEP_2) | instskip(NEXT) | instid1(VALU_DEP_1)
	v_add_co_u32 v2, s1, v4, s4
	v_add_co_ci_u32_e64 v3, null, 0, s5, s1
	s_delay_alu instid0(VALU_DEP_3) | instskip(NEXT) | instid1(VALU_DEP_3)
	v_div_fixup_f32 v29, v1, s0, 1.0
	v_add_co_u32 v22, vcc_lo, v2, 28
	s_delay_alu instid0(VALU_DEP_3)
	v_add_co_ci_u32_e32 v23, vcc_lo, 0, v3, vcc_lo
	s_mov_b32 s4, 0x43e00000
	s_branch .LBB30_15
.LBB30_14:                              ;   in Loop: Header=BB30_15 Depth=1
	s_or_b32 exec_lo, exec_lo, s0
	v_add_nc_u32_e32 v0, v0, v17
	v_add_co_u32 v22, s0, v22, v20
	v_add_nc_u32_e32 v26, v26, v27
	v_add_co_ci_u32_e64 v23, s0, v23, v21, s0
	s_delay_alu instid0(VALU_DEP_4) | instskip(SKIP_2) | instid1(SALU_CYCLE_1)
	v_cmp_le_i32_e32 vcc_lo, s3, v0
	global_store_b8 v[9:10], v2, off offset:7
	s_or_b32 s2, vcc_lo, s2
	s_and_not1_b32 exec_lo, exec_lo, s2
	s_cbranch_execz .LBB30_143
.LBB30_15:                              ; =>This Inner Loop Header: Depth=1
	v_add_nc_u32_e32 v1, s14, v0
	v_mov_b32_e32 v31, v19
	s_mov_b32 s0, exec_lo
	s_delay_alu instid0(VALU_DEP_2) | instskip(NEXT) | instid1(VALU_DEP_1)
	v_ashrrev_i32_e32 v2, 31, v1
	v_lshlrev_b64 v[1:2], 5, v[1:2]
	s_delay_alu instid0(VALU_DEP_1) | instskip(NEXT) | instid1(VALU_DEP_2)
	v_add_co_u32 v1, vcc_lo, s8, v1
	v_add_co_ci_u32_e32 v2, vcc_lo, s9, v2, vcc_lo
	global_load_b128 v[9:12], v[1:2], off
	global_load_b128 v[13:16], v[22:23], off offset:-28
	global_load_b128 v[1:4], v[1:2], off offset:16
	global_load_b128 v[5:8], v[22:23], off offset:-12
	s_waitcnt vmcnt(3)
	v_mul_f32_e32 v9, v9, v28
	s_waitcnt vmcnt(2)
	s_delay_alu instid0(VALU_DEP_1) | instskip(NEXT) | instid1(VALU_DEP_1)
	v_mul_f32_e32 v9, v9, v13
	v_mul_f32_e32 v9, v29, v9
	s_delay_alu instid0(VALU_DEP_1) | instskip(NEXT) | instid1(VALU_DEP_1)
	v_minmax_f32 v24, v9, s4, 0xc3e00000
	v_and_b32_e32 v18, 0x7fffff, v24
	v_lshrrev_b32_e32 v25, 24, v24
	v_and_b32_e32 v30, 0x7f800000, v24
	s_delay_alu instid0(VALU_DEP_2) | instskip(NEXT) | instid1(VALU_DEP_1)
	v_and_b32_e32 v9, 0x80, v25
	v_or_b32_e32 v13, 0x7e, v9
	s_delay_alu instid0(VALU_DEP_3)
	v_cmpx_ne_u64_e32 0x7f800000, v[30:31]
	s_xor_b32 s5, exec_lo, s0
	s_cbranch_execz .LBB30_29
; %bb.16:                               ;   in Loop: Header=BB30_15 Depth=1
	v_dual_mov_b32 v31, v19 :: v_dual_and_b32 v30, 0x7fffffff, v24
	s_mov_b32 s0, exec_lo
	s_delay_alu instid0(VALU_DEP_1)
	v_cmpx_gt_u64_e32 0x43e00001, v[30:31]
	s_xor_b32 s6, exec_lo, s0
	s_cbranch_execz .LBB30_28
; %bb.17:                               ;   in Loop: Header=BB30_15 Depth=1
	v_mov_b32_e32 v13, 0
	s_mov_b32 s7, exec_lo
	v_cmpx_ne_u32_e32 0, v24
	s_cbranch_execz .LBB30_27
; %bb.18:                               ;   in Loop: Header=BB30_15 Depth=1
	v_bfe_u32 v13, v24, 23, 8
	s_delay_alu instid0(VALU_DEP_1) | instskip(SKIP_2) | instid1(VALU_DEP_3)
	v_sub_nc_u32_e64 v24, 0x79, v13 clamp
	v_cmp_eq_u32_e32 vcc_lo, 0, v13
	v_add_nc_u32_e32 v13, 0xffffff88, v13
	v_cndmask_b32_e64 v30, v24, 0x78, vcc_lo
	v_or_b32_e32 v24, 0x800000, v18
	s_delay_alu instid0(VALU_DEP_3) | instskip(NEXT) | instid1(VALU_DEP_3)
	v_cndmask_b32_e64 v13, v13, 0xffffff89, vcc_lo
	v_add_nc_u32_e32 v25, 20, v30
	s_delay_alu instid0(VALU_DEP_3) | instskip(SKIP_1) | instid1(VALU_DEP_3)
	v_cndmask_b32_e32 v18, v24, v18, vcc_lo
	v_add_nc_u32_e32 v33, 19, v30
	v_lshlrev_b64 v[24:25], v25, -1
	s_delay_alu instid0(VALU_DEP_3) | instskip(NEXT) | instid1(VALU_DEP_2)
	v_lshrrev_b64 v[31:32], v30, v[18:19]
	v_not_b32_e32 v34, v25
	s_delay_alu instid0(VALU_DEP_3) | instskip(SKIP_1) | instid1(VALU_DEP_3)
	v_not_b32_e32 v35, v24
	v_lshlrev_b64 v[24:25], v33, 1
	v_and_b32_e32 v34, 0, v34
	s_delay_alu instid0(VALU_DEP_3) | instskip(SKIP_1) | instid1(VALU_DEP_2)
	v_and_b32_e32 v33, v18, v35
	v_and_b32_e32 v18, 0x100000, v31
	v_cmp_eq_u64_e64 s0, v[33:34], v[24:25]
	s_delay_alu instid0(VALU_DEP_2) | instskip(SKIP_1) | instid1(VALU_DEP_1)
	v_cmp_eq_u64_e64 s1, 0, v[18:19]
	v_lshrrev_b32_e32 v18, 23, v31
	v_add3_u32 v13, v13, v30, v18
	s_delay_alu instid0(VALU_DEP_3) | instskip(SKIP_2) | instid1(VALU_DEP_2)
	s_and_b32 vcc_lo, s1, s0
	s_mov_b32 s0, exec_lo
	v_subrev_co_ci_u32_e32 v24, vcc_lo, 0, v31, vcc_lo
	v_add_nc_u32_e32 v30, -1, v13
	s_delay_alu instid0(VALU_DEP_2) | instskip(NEXT) | instid1(VALU_DEP_1)
	v_and_b32_e32 v18, 0xfffff, v24
	v_add_co_u32 v24, vcc_lo, v18, v31
	v_add_co_ci_u32_e32 v25, vcc_lo, 0, v32, vcc_lo
                                        ; implicit-def: $vgpr18
	s_delay_alu instid0(VALU_DEP_4)
	v_cmpx_ne_u32_e32 0, v30
	s_xor_b32 s0, exec_lo, s0
; %bb.19:                               ;   in Loop: Header=BB30_15 Depth=1
	s_delay_alu instid0(VALU_DEP_3) | instskip(SKIP_1) | instid1(VALU_DEP_2)
	v_and_b32_e32 v18, 0x1000000, v24
	v_bfe_u32 v31, v24, 24, 1
	v_cmp_eq_u64_e32 vcc_lo, 0, v[18:19]
	s_delay_alu instid0(VALU_DEP_2)
	v_lshrrev_b64 v[24:25], v31, v[24:25]
	v_cndmask_b32_e32 v18, v13, v30, vcc_lo
; %bb.20:                               ;   in Loop: Header=BB30_15 Depth=1
	s_and_not1_saveexec_b32 s0, s0
; %bb.21:                               ;   in Loop: Header=BB30_15 Depth=1
	s_delay_alu instid0(VALU_DEP_2)
	v_bfe_u32 v18, v24, 23, 1
; %bb.22:                               ;   in Loop: Header=BB30_15 Depth=1
	s_or_b32 exec_lo, exec_lo, s0
	s_delay_alu instid0(VALU_DEP_3) | instskip(NEXT) | instid1(VALU_DEP_2)
	v_lshrrev_b64 v[24:25], 20, v[24:25]
	v_cmp_gt_i32_e32 vcc_lo, 16, v18
	v_cmp_ne_u32_e64 s0, 0, v18
                                        ; implicit-def: $vgpr13
	s_delay_alu instid0(VALU_DEP_3) | instskip(NEXT) | instid1(VALU_DEP_1)
	v_dual_cndmask_b32 v25, 0, v25 :: v_dual_cndmask_b32 v24, 7, v24
	v_cmp_ne_u64_e32 vcc_lo, 0, v[24:25]
	s_delay_alu instid0(VALU_DEP_3) | instskip(NEXT) | instid1(SALU_CYCLE_1)
	s_or_b32 s0, s0, vcc_lo
	s_and_saveexec_b32 s1, s0
	s_delay_alu instid0(SALU_CYCLE_1)
	s_xor_b32 s0, exec_lo, s1
; %bb.23:                               ;   in Loop: Header=BB30_15 Depth=1
	v_min_i32_e32 v13, 15, v18
	s_delay_alu instid0(VALU_DEP_1) | instskip(NEXT) | instid1(VALU_DEP_1)
	v_lshl_or_b32 v9, v13, 3, v9
	v_and_or_b32 v13, v24, 7, v9
                                        ; implicit-def: $vgpr9
; %bb.24:                               ;   in Loop: Header=BB30_15 Depth=1
	s_and_not1_saveexec_b32 s0, s0
; %bb.25:                               ;   in Loop: Header=BB30_15 Depth=1
	v_mov_b32_e32 v13, v9
; %bb.26:                               ;   in Loop: Header=BB30_15 Depth=1
	s_or_b32 exec_lo, exec_lo, s0
.LBB30_27:                              ;   in Loop: Header=BB30_15 Depth=1
	s_delay_alu instid0(SALU_CYCLE_1)
	s_or_b32 exec_lo, exec_lo, s7
.LBB30_28:                              ;   in Loop: Header=BB30_15 Depth=1
	s_and_not1_saveexec_b32 s0, s6
	s_delay_alu instid0(SALU_CYCLE_1)
	s_or_b32 exec_lo, exec_lo, s0
                                        ; implicit-def: $vgpr25
.LBB30_29:                              ;   in Loop: Header=BB30_15 Depth=1
	s_and_not1_saveexec_b32 s0, s5
; %bb.30:                               ;   in Loop: Header=BB30_15 Depth=1
	v_cmp_eq_u64_e32 vcc_lo, 0, v[18:19]
	v_or_b32_e32 v9, 0x7f, v25
	s_delay_alu instid0(VALU_DEP_1)
	v_cndmask_b32_e32 v13, v9, v13, vcc_lo
; %bb.31:                               ;   in Loop: Header=BB30_15 Depth=1
	s_or_b32 exec_lo, exec_lo, s0
	v_dual_mul_f32 v9, v10, v28 :: v_dual_mov_b32 v32, v19
	v_ashrrev_i32_e32 v10, 31, v26
	s_mov_b32 s0, exec_lo
	s_delay_alu instid0(VALU_DEP_2) | instskip(NEXT) | instid1(VALU_DEP_1)
	v_mul_f32_e32 v9, v9, v14
	v_mul_f32_e32 v9, v29, v9
	s_delay_alu instid0(VALU_DEP_1) | instskip(SKIP_2) | instid1(VALU_DEP_3)
	v_minmax_f32 v25, v9, s4, 0xc3e00000
	v_add_co_u32 v9, vcc_lo, s10, v26
	v_add_co_ci_u32_e32 v10, vcc_lo, s11, v10, vcc_lo
	v_lshrrev_b32_e32 v30, 24, v25
	v_and_b32_e32 v31, 0x7f800000, v25
	v_and_b32_e32 v18, 0x7fffff, v25
	global_store_b8 v[9:10], v13, off
	v_and_b32_e32 v24, 0x80, v30
	s_delay_alu instid0(VALU_DEP_1)
	v_or_b32_e32 v14, 0x7e, v24
	v_cmpx_ne_u64_e32 0x7f800000, v[31:32]
	s_xor_b32 s5, exec_lo, s0
	s_cbranch_execz .LBB30_45
; %bb.32:                               ;   in Loop: Header=BB30_15 Depth=1
	v_dual_mov_b32 v31, v19 :: v_dual_and_b32 v30, 0x7fffffff, v25
	s_mov_b32 s0, exec_lo
	s_delay_alu instid0(VALU_DEP_1)
	v_cmpx_gt_u64_e32 0x43e00001, v[30:31]
	s_xor_b32 s6, exec_lo, s0
	s_cbranch_execz .LBB30_44
; %bb.33:                               ;   in Loop: Header=BB30_15 Depth=1
	v_mov_b32_e32 v14, 0
	s_mov_b32 s7, exec_lo
	v_cmpx_ne_u32_e32 0, v25
	s_cbranch_execz .LBB30_43
; %bb.34:                               ;   in Loop: Header=BB30_15 Depth=1
	v_bfe_u32 v25, v25, 23, 8
	s_delay_alu instid0(VALU_DEP_1) | instskip(SKIP_2) | instid1(VALU_DEP_3)
	v_sub_nc_u32_e64 v13, 0x79, v25 clamp
	v_cmp_eq_u32_e32 vcc_lo, 0, v25
	v_add_nc_u32_e32 v25, 0xffffff88, v25
	v_cndmask_b32_e64 v30, v13, 0x78, vcc_lo
	v_or_b32_e32 v13, 0x800000, v18
	s_delay_alu instid0(VALU_DEP_2) | instskip(NEXT) | instid1(VALU_DEP_2)
	v_add_nc_u32_e32 v14, 20, v30
	v_cndmask_b32_e32 v18, v13, v18, vcc_lo
	v_add_nc_u32_e32 v33, 19, v30
	s_delay_alu instid0(VALU_DEP_3) | instskip(NEXT) | instid1(VALU_DEP_3)
	v_lshlrev_b64 v[13:14], v14, -1
	v_lshrrev_b64 v[31:32], v30, v[18:19]
	s_delay_alu instid0(VALU_DEP_2) | instskip(NEXT) | instid1(VALU_DEP_3)
	v_not_b32_e32 v34, v14
	v_not_b32_e32 v35, v13
	v_lshlrev_b64 v[13:14], v33, 1
	s_delay_alu instid0(VALU_DEP_3) | instskip(NEXT) | instid1(VALU_DEP_3)
	v_and_b32_e32 v34, 0, v34
	v_and_b32_e32 v33, v18, v35
	;; [unrolled: 1-line block ×3, first 2 shown]
	s_delay_alu instid0(VALU_DEP_2) | instskip(NEXT) | instid1(VALU_DEP_2)
	v_cmp_eq_u64_e64 s0, v[33:34], v[13:14]
	v_cmp_eq_u64_e64 s1, 0, v[18:19]
	v_cndmask_b32_e64 v13, v25, 0xffffff89, vcc_lo
	v_lshrrev_b32_e32 v14, 23, v31
	s_delay_alu instid0(VALU_DEP_3) | instskip(NEXT) | instid1(VALU_DEP_1)
	s_and_b32 vcc_lo, s1, s0
	v_add3_u32 v25, v13, v30, v14
	v_subrev_co_ci_u32_e32 v18, vcc_lo, 0, v31, vcc_lo
	s_mov_b32 s0, exec_lo
	s_delay_alu instid0(VALU_DEP_2) | instskip(NEXT) | instid1(VALU_DEP_2)
	v_add_nc_u32_e32 v30, -1, v25
	v_and_b32_e32 v13, 0xfffff, v18
                                        ; implicit-def: $vgpr18
	s_delay_alu instid0(VALU_DEP_1) | instskip(SKIP_1) | instid1(VALU_DEP_4)
	v_add_co_u32 v13, vcc_lo, v13, v31
	v_add_co_ci_u32_e32 v14, vcc_lo, 0, v32, vcc_lo
	v_cmpx_ne_u32_e32 0, v30
	s_xor_b32 s0, exec_lo, s0
; %bb.35:                               ;   in Loop: Header=BB30_15 Depth=1
	s_delay_alu instid0(VALU_DEP_3) | instskip(SKIP_1) | instid1(VALU_DEP_2)
	v_and_b32_e32 v18, 0x1000000, v13
	v_bfe_u32 v31, v13, 24, 1
	v_cmp_eq_u64_e32 vcc_lo, 0, v[18:19]
	s_delay_alu instid0(VALU_DEP_2)
	v_lshrrev_b64 v[13:14], v31, v[13:14]
	v_cndmask_b32_e32 v18, v25, v30, vcc_lo
; %bb.36:                               ;   in Loop: Header=BB30_15 Depth=1
	s_and_not1_saveexec_b32 s0, s0
; %bb.37:                               ;   in Loop: Header=BB30_15 Depth=1
	s_delay_alu instid0(VALU_DEP_2)
	v_bfe_u32 v18, v13, 23, 1
; %bb.38:                               ;   in Loop: Header=BB30_15 Depth=1
	s_or_b32 exec_lo, exec_lo, s0
	s_delay_alu instid0(VALU_DEP_3) | instskip(NEXT) | instid1(VALU_DEP_2)
	v_lshrrev_b64 v[13:14], 20, v[13:14]
	v_cmp_gt_i32_e32 vcc_lo, 16, v18
	v_cmp_ne_u32_e64 s0, 0, v18
	s_delay_alu instid0(VALU_DEP_3) | instskip(NEXT) | instid1(VALU_DEP_1)
	v_dual_cndmask_b32 v14, 0, v14 :: v_dual_cndmask_b32 v13, 7, v13
	v_cmp_ne_u64_e32 vcc_lo, 0, v[13:14]
                                        ; implicit-def: $vgpr14
	s_delay_alu instid0(VALU_DEP_3) | instskip(NEXT) | instid1(SALU_CYCLE_1)
	s_or_b32 s0, s0, vcc_lo
	s_and_saveexec_b32 s1, s0
	s_delay_alu instid0(SALU_CYCLE_1)
	s_xor_b32 s0, exec_lo, s1
; %bb.39:                               ;   in Loop: Header=BB30_15 Depth=1
	v_min_i32_e32 v14, 15, v18
	s_delay_alu instid0(VALU_DEP_1) | instskip(NEXT) | instid1(VALU_DEP_1)
	v_lshl_or_b32 v14, v14, 3, v24
                                        ; implicit-def: $vgpr24
	v_and_or_b32 v14, v13, 7, v14
; %bb.40:                               ;   in Loop: Header=BB30_15 Depth=1
	s_and_not1_saveexec_b32 s0, s0
; %bb.41:                               ;   in Loop: Header=BB30_15 Depth=1
	v_mov_b32_e32 v14, v24
; %bb.42:                               ;   in Loop: Header=BB30_15 Depth=1
	s_or_b32 exec_lo, exec_lo, s0
.LBB30_43:                              ;   in Loop: Header=BB30_15 Depth=1
	s_delay_alu instid0(SALU_CYCLE_1)
	s_or_b32 exec_lo, exec_lo, s7
.LBB30_44:                              ;   in Loop: Header=BB30_15 Depth=1
	s_and_not1_saveexec_b32 s0, s6
	s_delay_alu instid0(SALU_CYCLE_1)
	s_or_b32 exec_lo, exec_lo, s0
                                        ; implicit-def: $vgpr30
.LBB30_45:                              ;   in Loop: Header=BB30_15 Depth=1
	s_and_not1_saveexec_b32 s0, s5
; %bb.46:                               ;   in Loop: Header=BB30_15 Depth=1
	v_cmp_eq_u64_e32 vcc_lo, 0, v[18:19]
	v_or_b32_e32 v13, 0x7f, v30
	s_delay_alu instid0(VALU_DEP_1)
	v_cndmask_b32_e32 v14, v13, v14, vcc_lo
; %bb.47:                               ;   in Loop: Header=BB30_15 Depth=1
	s_or_b32 exec_lo, exec_lo, s0
	v_mul_f32_e32 v11, v11, v28
	v_mov_b32_e32 v31, v19
	global_store_b8 v[9:10], v14, off offset:1
	s_mov_b32 s0, exec_lo
	v_mul_f32_e32 v11, v11, v15
	s_delay_alu instid0(VALU_DEP_1) | instskip(NEXT) | instid1(VALU_DEP_1)
	v_mul_f32_e32 v11, v29, v11
	v_minmax_f32 v13, v11, s4, 0xc3e00000
	s_delay_alu instid0(VALU_DEP_1) | instskip(SKIP_2) | instid1(VALU_DEP_2)
	v_and_b32_e32 v18, 0x7fffff, v13
	v_lshrrev_b32_e32 v24, 24, v13
	v_and_b32_e32 v30, 0x7f800000, v13
	v_and_b32_e32 v11, 0x80, v24
	s_delay_alu instid0(VALU_DEP_1) | instskip(NEXT) | instid1(VALU_DEP_3)
	v_or_b32_e32 v15, 0x7e, v11
	v_cmpx_ne_u64_e32 0x7f800000, v[30:31]
	s_xor_b32 s5, exec_lo, s0
	s_cbranch_execz .LBB30_61
; %bb.48:                               ;   in Loop: Header=BB30_15 Depth=1
	v_dual_mov_b32 v25, v19 :: v_dual_and_b32 v24, 0x7fffffff, v13
	s_mov_b32 s0, exec_lo
	s_delay_alu instid0(VALU_DEP_1)
	v_cmpx_gt_u64_e32 0x43e00001, v[24:25]
	s_xor_b32 s6, exec_lo, s0
	s_cbranch_execz .LBB30_60
; %bb.49:                               ;   in Loop: Header=BB30_15 Depth=1
	v_mov_b32_e32 v15, 0
	s_mov_b32 s7, exec_lo
	v_cmpx_ne_u32_e32 0, v13
	s_cbranch_execz .LBB30_59
; %bb.50:                               ;   in Loop: Header=BB30_15 Depth=1
	v_bfe_u32 v15, v13, 23, 8
	s_delay_alu instid0(VALU_DEP_1) | instskip(SKIP_2) | instid1(VALU_DEP_3)
	v_sub_nc_u32_e64 v13, 0x79, v15 clamp
	v_cmp_eq_u32_e32 vcc_lo, 0, v15
	v_add_nc_u32_e32 v15, 0xffffff88, v15
	v_cndmask_b32_e64 v32, v13, 0x78, vcc_lo
	v_or_b32_e32 v13, 0x800000, v18
	s_delay_alu instid0(VALU_DEP_2) | instskip(NEXT) | instid1(VALU_DEP_2)
	v_add_nc_u32_e32 v14, 20, v32
	v_cndmask_b32_e32 v18, v13, v18, vcc_lo
	v_add_nc_u32_e32 v24, 19, v32
	s_delay_alu instid0(VALU_DEP_3) | instskip(NEXT) | instid1(VALU_DEP_1)
	v_lshlrev_b64 v[13:14], v14, -1
	v_not_b32_e32 v25, v14
	s_delay_alu instid0(VALU_DEP_2) | instskip(NEXT) | instid1(VALU_DEP_4)
	v_not_b32_e32 v33, v13
	v_lshlrev_b64 v[13:14], v24, 1
	s_delay_alu instid0(VALU_DEP_3) | instskip(SKIP_1) | instid1(VALU_DEP_4)
	v_and_b32_e32 v25, 0, v25
	v_lshrrev_b64 v[30:31], v32, v[18:19]
	v_and_b32_e32 v24, v18, v33
	s_delay_alu instid0(VALU_DEP_1) | instskip(NEXT) | instid1(VALU_DEP_3)
	v_cmp_eq_u64_e64 s0, v[24:25], v[13:14]
	v_and_b32_e32 v18, 0x100000, v30
	v_cndmask_b32_e64 v13, v15, 0xffffff89, vcc_lo
	v_lshrrev_b32_e32 v14, 23, v30
	s_delay_alu instid0(VALU_DEP_3) | instskip(NEXT) | instid1(VALU_DEP_2)
	v_cmp_eq_u64_e64 s1, 0, v[18:19]
	v_add3_u32 v15, v13, v32, v14
	s_delay_alu instid0(VALU_DEP_2) | instskip(NEXT) | instid1(VALU_DEP_1)
	s_and_b32 vcc_lo, s1, s0
	v_add_nc_u32_e32 v24, -1, v15
	v_subrev_co_ci_u32_e32 v18, vcc_lo, 0, v30, vcc_lo
	s_mov_b32 s0, exec_lo
	s_delay_alu instid0(VALU_DEP_1) | instskip(NEXT) | instid1(VALU_DEP_1)
	v_and_b32_e32 v13, 0xfffff, v18
                                        ; implicit-def: $vgpr18
	v_add_co_u32 v13, vcc_lo, v13, v30
	v_add_co_ci_u32_e32 v14, vcc_lo, 0, v31, vcc_lo
	v_cmpx_ne_u32_e32 0, v24
	s_xor_b32 s0, exec_lo, s0
; %bb.51:                               ;   in Loop: Header=BB30_15 Depth=1
	s_delay_alu instid0(VALU_DEP_3) | instskip(SKIP_1) | instid1(VALU_DEP_2)
	v_and_b32_e32 v18, 0x1000000, v13
	v_bfe_u32 v25, v13, 24, 1
	v_cmp_eq_u64_e32 vcc_lo, 0, v[18:19]
	s_delay_alu instid0(VALU_DEP_2)
	v_lshrrev_b64 v[13:14], v25, v[13:14]
	v_cndmask_b32_e32 v18, v15, v24, vcc_lo
; %bb.52:                               ;   in Loop: Header=BB30_15 Depth=1
	s_and_not1_saveexec_b32 s0, s0
; %bb.53:                               ;   in Loop: Header=BB30_15 Depth=1
	s_delay_alu instid0(VALU_DEP_2)
	v_bfe_u32 v18, v13, 23, 1
; %bb.54:                               ;   in Loop: Header=BB30_15 Depth=1
	s_or_b32 exec_lo, exec_lo, s0
	s_delay_alu instid0(VALU_DEP_3) | instskip(NEXT) | instid1(VALU_DEP_2)
	v_lshrrev_b64 v[13:14], 20, v[13:14]
	v_cmp_gt_i32_e32 vcc_lo, 16, v18
	v_cmp_ne_u32_e64 s0, 0, v18
                                        ; implicit-def: $vgpr15
	s_delay_alu instid0(VALU_DEP_3) | instskip(NEXT) | instid1(VALU_DEP_1)
	v_dual_cndmask_b32 v14, 0, v14 :: v_dual_cndmask_b32 v13, 7, v13
	v_cmp_ne_u64_e32 vcc_lo, 0, v[13:14]
	s_delay_alu instid0(VALU_DEP_3) | instskip(NEXT) | instid1(SALU_CYCLE_1)
	s_or_b32 s0, s0, vcc_lo
	s_and_saveexec_b32 s1, s0
	s_delay_alu instid0(SALU_CYCLE_1)
	s_xor_b32 s0, exec_lo, s1
; %bb.55:                               ;   in Loop: Header=BB30_15 Depth=1
	v_min_i32_e32 v14, 15, v18
	s_delay_alu instid0(VALU_DEP_1) | instskip(NEXT) | instid1(VALU_DEP_1)
	v_lshl_or_b32 v11, v14, 3, v11
	v_and_or_b32 v15, v13, 7, v11
                                        ; implicit-def: $vgpr11
; %bb.56:                               ;   in Loop: Header=BB30_15 Depth=1
	s_and_not1_saveexec_b32 s0, s0
; %bb.57:                               ;   in Loop: Header=BB30_15 Depth=1
	v_mov_b32_e32 v15, v11
; %bb.58:                               ;   in Loop: Header=BB30_15 Depth=1
	s_or_b32 exec_lo, exec_lo, s0
.LBB30_59:                              ;   in Loop: Header=BB30_15 Depth=1
	s_delay_alu instid0(SALU_CYCLE_1)
	s_or_b32 exec_lo, exec_lo, s7
.LBB30_60:                              ;   in Loop: Header=BB30_15 Depth=1
	s_and_not1_saveexec_b32 s0, s6
	s_delay_alu instid0(SALU_CYCLE_1)
	s_or_b32 exec_lo, exec_lo, s0
                                        ; implicit-def: $vgpr24
.LBB30_61:                              ;   in Loop: Header=BB30_15 Depth=1
	s_and_not1_saveexec_b32 s0, s5
; %bb.62:                               ;   in Loop: Header=BB30_15 Depth=1
	v_cmp_eq_u64_e32 vcc_lo, 0, v[18:19]
	v_or_b32_e32 v11, 0x7f, v24
	s_delay_alu instid0(VALU_DEP_1)
	v_cndmask_b32_e32 v15, v11, v15, vcc_lo
; %bb.63:                               ;   in Loop: Header=BB30_15 Depth=1
	s_or_b32 exec_lo, exec_lo, s0
	v_mul_f32_e32 v11, v12, v28
	global_store_b8 v[9:10], v15, off offset:2
	s_mov_b32 s0, exec_lo
	v_mov_b32_e32 v25, v19
	v_mul_f32_e32 v11, v11, v16
	s_delay_alu instid0(VALU_DEP_1) | instskip(NEXT) | instid1(VALU_DEP_1)
	v_mul_f32_e32 v11, v29, v11
	v_minmax_f32 v11, v11, s4, 0xc3e00000
	s_delay_alu instid0(VALU_DEP_1) | instskip(SKIP_2) | instid1(VALU_DEP_3)
	v_lshrrev_b32_e32 v14, 24, v11
	v_and_b32_e32 v24, 0x7f800000, v11
	v_and_b32_e32 v18, 0x7fffff, v11
	;; [unrolled: 1-line block ×3, first 2 shown]
	s_delay_alu instid0(VALU_DEP_1) | instskip(NEXT) | instid1(VALU_DEP_4)
	v_or_b32_e32 v12, 0x7e, v13
	v_cmpx_ne_u64_e32 0x7f800000, v[24:25]
	s_xor_b32 s5, exec_lo, s0
	s_cbranch_execz .LBB30_77
; %bb.64:                               ;   in Loop: Header=BB30_15 Depth=1
	v_dual_mov_b32 v15, v19 :: v_dual_and_b32 v14, 0x7fffffff, v11
	s_mov_b32 s0, exec_lo
	s_delay_alu instid0(VALU_DEP_1)
	v_cmpx_gt_u64_e32 0x43e00001, v[14:15]
	s_xor_b32 s6, exec_lo, s0
	s_cbranch_execz .LBB30_76
; %bb.65:                               ;   in Loop: Header=BB30_15 Depth=1
	v_mov_b32_e32 v12, 0
	s_mov_b32 s7, exec_lo
	v_cmpx_ne_u32_e32 0, v11
	s_cbranch_execz .LBB30_75
; %bb.66:                               ;   in Loop: Header=BB30_15 Depth=1
	v_bfe_u32 v16, v11, 23, 8
	s_delay_alu instid0(VALU_DEP_1) | instskip(SKIP_2) | instid1(VALU_DEP_3)
	v_sub_nc_u32_e64 v11, 0x79, v16 clamp
	v_cmp_eq_u32_e32 vcc_lo, 0, v16
	v_add_nc_u32_e32 v16, 0xffffff88, v16
	v_cndmask_b32_e64 v30, v11, 0x78, vcc_lo
	v_or_b32_e32 v11, 0x800000, v18
	s_delay_alu instid0(VALU_DEP_2) | instskip(NEXT) | instid1(VALU_DEP_2)
	v_add_nc_u32_e32 v12, 20, v30
	v_cndmask_b32_e32 v18, v11, v18, vcc_lo
	v_add_nc_u32_e32 v14, 19, v30
	s_delay_alu instid0(VALU_DEP_3) | instskip(NEXT) | instid1(VALU_DEP_1)
	v_lshlrev_b64 v[11:12], v12, -1
	v_not_b32_e32 v15, v12
	s_delay_alu instid0(VALU_DEP_2) | instskip(NEXT) | instid1(VALU_DEP_4)
	v_not_b32_e32 v31, v11
	v_lshlrev_b64 v[11:12], v14, 1
	s_delay_alu instid0(VALU_DEP_3) | instskip(SKIP_1) | instid1(VALU_DEP_4)
	v_and_b32_e32 v15, 0, v15
	v_lshrrev_b64 v[24:25], v30, v[18:19]
	v_and_b32_e32 v14, v18, v31
	s_delay_alu instid0(VALU_DEP_1) | instskip(NEXT) | instid1(VALU_DEP_3)
	v_cmp_eq_u64_e64 s0, v[14:15], v[11:12]
	v_and_b32_e32 v18, 0x100000, v24
	v_cndmask_b32_e64 v11, v16, 0xffffff89, vcc_lo
	v_lshrrev_b32_e32 v12, 23, v24
	s_delay_alu instid0(VALU_DEP_3) | instskip(NEXT) | instid1(VALU_DEP_2)
	v_cmp_eq_u64_e64 s1, 0, v[18:19]
	v_add3_u32 v15, v11, v30, v12
	s_delay_alu instid0(VALU_DEP_2) | instskip(NEXT) | instid1(VALU_DEP_1)
	s_and_b32 vcc_lo, s1, s0
	v_add_nc_u32_e32 v16, -1, v15
	v_subrev_co_ci_u32_e32 v14, vcc_lo, 0, v24, vcc_lo
	s_mov_b32 s0, exec_lo
	s_delay_alu instid0(VALU_DEP_1) | instskip(NEXT) | instid1(VALU_DEP_1)
	v_and_b32_e32 v11, 0xfffff, v14
                                        ; implicit-def: $vgpr14
	v_add_co_u32 v11, vcc_lo, v11, v24
	v_add_co_ci_u32_e32 v12, vcc_lo, 0, v25, vcc_lo
	v_cmpx_ne_u32_e32 0, v16
	s_xor_b32 s0, exec_lo, s0
; %bb.67:                               ;   in Loop: Header=BB30_15 Depth=1
	s_delay_alu instid0(VALU_DEP_3) | instskip(SKIP_1) | instid1(VALU_DEP_2)
	v_and_b32_e32 v18, 0x1000000, v11
	v_bfe_u32 v14, v11, 24, 1
	v_cmp_eq_u64_e32 vcc_lo, 0, v[18:19]
	s_delay_alu instid0(VALU_DEP_2)
	v_lshrrev_b64 v[11:12], v14, v[11:12]
	v_cndmask_b32_e32 v14, v15, v16, vcc_lo
; %bb.68:                               ;   in Loop: Header=BB30_15 Depth=1
	s_and_not1_saveexec_b32 s0, s0
; %bb.69:                               ;   in Loop: Header=BB30_15 Depth=1
	s_delay_alu instid0(VALU_DEP_2)
	v_bfe_u32 v14, v11, 23, 1
; %bb.70:                               ;   in Loop: Header=BB30_15 Depth=1
	s_or_b32 exec_lo, exec_lo, s0
	s_delay_alu instid0(VALU_DEP_3) | instskip(NEXT) | instid1(VALU_DEP_2)
	v_lshrrev_b64 v[11:12], 20, v[11:12]
	v_cmp_gt_i32_e32 vcc_lo, 16, v14
	v_cmp_ne_u32_e64 s0, 0, v14
	s_delay_alu instid0(VALU_DEP_3) | instskip(NEXT) | instid1(VALU_DEP_1)
	v_dual_cndmask_b32 v12, 0, v12 :: v_dual_cndmask_b32 v11, 7, v11
	v_cmp_ne_u64_e32 vcc_lo, 0, v[11:12]
                                        ; implicit-def: $vgpr12
	s_delay_alu instid0(VALU_DEP_3) | instskip(NEXT) | instid1(SALU_CYCLE_1)
	s_or_b32 s0, s0, vcc_lo
	s_and_saveexec_b32 s1, s0
	s_delay_alu instid0(SALU_CYCLE_1)
	s_xor_b32 s0, exec_lo, s1
; %bb.71:                               ;   in Loop: Header=BB30_15 Depth=1
	v_min_i32_e32 v12, 15, v14
	s_delay_alu instid0(VALU_DEP_1) | instskip(NEXT) | instid1(VALU_DEP_1)
	v_lshl_or_b32 v12, v12, 3, v13
                                        ; implicit-def: $vgpr13
	v_and_or_b32 v12, v11, 7, v12
; %bb.72:                               ;   in Loop: Header=BB30_15 Depth=1
	s_and_not1_saveexec_b32 s0, s0
; %bb.73:                               ;   in Loop: Header=BB30_15 Depth=1
	v_mov_b32_e32 v12, v13
; %bb.74:                               ;   in Loop: Header=BB30_15 Depth=1
	s_or_b32 exec_lo, exec_lo, s0
.LBB30_75:                              ;   in Loop: Header=BB30_15 Depth=1
	s_delay_alu instid0(SALU_CYCLE_1)
	s_or_b32 exec_lo, exec_lo, s7
.LBB30_76:                              ;   in Loop: Header=BB30_15 Depth=1
	s_and_not1_saveexec_b32 s0, s6
	s_delay_alu instid0(SALU_CYCLE_1)
	s_or_b32 exec_lo, exec_lo, s0
                                        ; implicit-def: $vgpr14
.LBB30_77:                              ;   in Loop: Header=BB30_15 Depth=1
	s_and_not1_saveexec_b32 s0, s5
; %bb.78:                               ;   in Loop: Header=BB30_15 Depth=1
	v_cmp_eq_u64_e32 vcc_lo, 0, v[18:19]
	v_or_b32_e32 v11, 0x7f, v14
	s_delay_alu instid0(VALU_DEP_1)
	v_cndmask_b32_e32 v12, v11, v12, vcc_lo
; %bb.79:                               ;   in Loop: Header=BB30_15 Depth=1
	s_or_b32 exec_lo, exec_lo, s0
	s_waitcnt vmcnt(1)
	v_dual_mul_f32 v1, v1, v28 :: v_dual_mov_b32 v14, v19
	global_store_b8 v[9:10], v12, off offset:3
	s_waitcnt vmcnt(0)
	v_mul_f32_e32 v1, v1, v5
	s_delay_alu instid0(VALU_DEP_1) | instskip(NEXT) | instid1(VALU_DEP_1)
	v_mul_f32_e32 v1, v29, v1
	v_minmax_f32 v5, v1, s4, 0xc3e00000
	s_delay_alu instid0(VALU_DEP_1) | instskip(SKIP_2) | instid1(VALU_DEP_3)
	v_lshrrev_b32_e32 v11, 24, v5
	v_and_b32_e32 v13, 0x7f800000, v5
	v_and_b32_e32 v18, 0x7fffff, v5
	;; [unrolled: 1-line block ×3, first 2 shown]
	s_delay_alu instid0(VALU_DEP_3) | instskip(NEXT) | instid1(VALU_DEP_2)
	v_cmp_ne_u64_e32 vcc_lo, 0x7f800000, v[13:14]
	v_or_b32_e32 v13, 0x7e, v1
	s_and_saveexec_b32 s0, vcc_lo
	s_delay_alu instid0(SALU_CYCLE_1)
	s_xor_b32 s5, exec_lo, s0
	s_cbranch_execz .LBB30_93
; %bb.80:                               ;   in Loop: Header=BB30_15 Depth=1
	v_dual_mov_b32 v12, v19 :: v_dual_and_b32 v11, 0x7fffffff, v5
	s_mov_b32 s0, exec_lo
	s_delay_alu instid0(VALU_DEP_1)
	v_cmpx_gt_u64_e32 0x43e00001, v[11:12]
	s_xor_b32 s6, exec_lo, s0
	s_cbranch_execz .LBB30_92
; %bb.81:                               ;   in Loop: Header=BB30_15 Depth=1
	v_mov_b32_e32 v13, 0
	s_mov_b32 s7, exec_lo
	v_cmpx_ne_u32_e32 0, v5
	s_cbranch_execz .LBB30_91
; %bb.82:                               ;   in Loop: Header=BB30_15 Depth=1
	v_bfe_u32 v5, v5, 23, 8
	s_delay_alu instid0(VALU_DEP_1) | instskip(SKIP_2) | instid1(VALU_DEP_3)
	v_sub_nc_u32_e64 v11, 0x79, v5 clamp
	v_cmp_eq_u32_e32 vcc_lo, 0, v5
	v_add_nc_u32_e32 v5, 0xffffff88, v5
	v_cndmask_b32_e64 v24, v11, 0x78, vcc_lo
	v_or_b32_e32 v11, 0x800000, v18
	s_delay_alu instid0(VALU_DEP_3) | instskip(NEXT) | instid1(VALU_DEP_3)
	v_cndmask_b32_e64 v5, v5, 0xffffff89, vcc_lo
	v_add_nc_u32_e32 v12, 20, v24
	s_delay_alu instid0(VALU_DEP_3) | instskip(NEXT) | instid1(VALU_DEP_2)
	v_dual_cndmask_b32 v18, v11, v18 :: v_dual_add_nc_u32 v13, 19, v24
	v_lshlrev_b64 v[11:12], v12, -1
	s_delay_alu instid0(VALU_DEP_2) | instskip(NEXT) | instid1(VALU_DEP_2)
	v_lshrrev_b64 v[15:16], v24, v[18:19]
	v_not_b32_e32 v14, v12
	s_delay_alu instid0(VALU_DEP_3) | instskip(SKIP_1) | instid1(VALU_DEP_3)
	v_not_b32_e32 v25, v11
	v_lshlrev_b64 v[11:12], v13, 1
	v_and_b32_e32 v14, 0, v14
	s_delay_alu instid0(VALU_DEP_3) | instskip(SKIP_1) | instid1(VALU_DEP_2)
	v_and_b32_e32 v13, v18, v25
	v_and_b32_e32 v18, 0x100000, v15
	v_cmp_eq_u64_e64 s0, v[13:14], v[11:12]
	s_delay_alu instid0(VALU_DEP_2) | instskip(SKIP_1) | instid1(VALU_DEP_1)
	v_cmp_eq_u64_e64 s1, 0, v[18:19]
	v_lshrrev_b32_e32 v11, 23, v15
	v_add3_u32 v13, v5, v24, v11
	s_delay_alu instid0(VALU_DEP_3) | instskip(SKIP_2) | instid1(VALU_DEP_2)
	s_and_b32 vcc_lo, s1, s0
	s_mov_b32 s0, exec_lo
	v_subrev_co_ci_u32_e32 v12, vcc_lo, 0, v15, vcc_lo
	v_add_nc_u32_e32 v14, -1, v13
	s_delay_alu instid0(VALU_DEP_2) | instskip(NEXT) | instid1(VALU_DEP_1)
	v_and_b32_e32 v5, 0xfffff, v12
	v_add_co_u32 v11, vcc_lo, v5, v15
	v_add_co_ci_u32_e32 v12, vcc_lo, 0, v16, vcc_lo
                                        ; implicit-def: $vgpr5
	s_delay_alu instid0(VALU_DEP_4)
	v_cmpx_ne_u32_e32 0, v14
	s_xor_b32 s0, exec_lo, s0
; %bb.83:                               ;   in Loop: Header=BB30_15 Depth=1
	s_delay_alu instid0(VALU_DEP_3) | instskip(SKIP_1) | instid1(VALU_DEP_2)
	v_and_b32_e32 v18, 0x1000000, v11
	v_bfe_u32 v5, v11, 24, 1
	v_cmp_eq_u64_e32 vcc_lo, 0, v[18:19]
	s_delay_alu instid0(VALU_DEP_2)
	v_lshrrev_b64 v[11:12], v5, v[11:12]
	v_cndmask_b32_e32 v5, v13, v14, vcc_lo
; %bb.84:                               ;   in Loop: Header=BB30_15 Depth=1
	s_and_not1_saveexec_b32 s0, s0
; %bb.85:                               ;   in Loop: Header=BB30_15 Depth=1
	s_delay_alu instid0(VALU_DEP_2)
	v_bfe_u32 v5, v11, 23, 1
; %bb.86:                               ;   in Loop: Header=BB30_15 Depth=1
	s_or_b32 exec_lo, exec_lo, s0
	s_delay_alu instid0(VALU_DEP_3) | instskip(NEXT) | instid1(VALU_DEP_2)
	v_lshrrev_b64 v[11:12], 20, v[11:12]
	v_cmp_gt_i32_e32 vcc_lo, 16, v5
	v_cmp_ne_u32_e64 s0, 0, v5
                                        ; implicit-def: $vgpr13
	s_delay_alu instid0(VALU_DEP_3) | instskip(NEXT) | instid1(VALU_DEP_1)
	v_dual_cndmask_b32 v12, 0, v12 :: v_dual_cndmask_b32 v11, 7, v11
	v_cmp_ne_u64_e32 vcc_lo, 0, v[11:12]
	s_delay_alu instid0(VALU_DEP_3) | instskip(NEXT) | instid1(SALU_CYCLE_1)
	s_or_b32 s0, s0, vcc_lo
	s_and_saveexec_b32 s1, s0
	s_delay_alu instid0(SALU_CYCLE_1)
	s_xor_b32 s0, exec_lo, s1
; %bb.87:                               ;   in Loop: Header=BB30_15 Depth=1
	v_min_i32_e32 v5, 15, v5
	s_delay_alu instid0(VALU_DEP_1) | instskip(NEXT) | instid1(VALU_DEP_1)
	v_lshl_or_b32 v1, v5, 3, v1
	v_and_or_b32 v13, v11, 7, v1
                                        ; implicit-def: $vgpr1
; %bb.88:                               ;   in Loop: Header=BB30_15 Depth=1
	s_and_not1_saveexec_b32 s0, s0
; %bb.89:                               ;   in Loop: Header=BB30_15 Depth=1
	v_mov_b32_e32 v13, v1
; %bb.90:                               ;   in Loop: Header=BB30_15 Depth=1
	s_or_b32 exec_lo, exec_lo, s0
.LBB30_91:                              ;   in Loop: Header=BB30_15 Depth=1
	s_delay_alu instid0(SALU_CYCLE_1)
	s_or_b32 exec_lo, exec_lo, s7
.LBB30_92:                              ;   in Loop: Header=BB30_15 Depth=1
	s_and_not1_saveexec_b32 s0, s6
	s_delay_alu instid0(SALU_CYCLE_1)
	s_or_b32 exec_lo, exec_lo, s0
                                        ; implicit-def: $vgpr11
.LBB30_93:                              ;   in Loop: Header=BB30_15 Depth=1
	s_and_not1_saveexec_b32 s0, s5
; %bb.94:                               ;   in Loop: Header=BB30_15 Depth=1
	v_cmp_eq_u64_e32 vcc_lo, 0, v[18:19]
	v_or_b32_e32 v1, 0x7f, v11
	s_delay_alu instid0(VALU_DEP_1)
	v_cndmask_b32_e32 v13, v1, v13, vcc_lo
; %bb.95:                               ;   in Loop: Header=BB30_15 Depth=1
	s_or_b32 exec_lo, exec_lo, s0
	v_dual_mul_f32 v1, v2, v28 :: v_dual_mov_b32 v12, v19
	global_store_b8 v[9:10], v13, off offset:4
	s_mov_b32 s0, exec_lo
	v_mul_f32_e32 v1, v1, v6
	s_delay_alu instid0(VALU_DEP_1) | instskip(NEXT) | instid1(VALU_DEP_1)
	v_mul_f32_e32 v1, v29, v1
	v_minmax_f32 v1, v1, s4, 0xc3e00000
	s_delay_alu instid0(VALU_DEP_1) | instskip(SKIP_2) | instid1(VALU_DEP_3)
	v_lshrrev_b32_e32 v6, 24, v1
	v_and_b32_e32 v11, 0x7f800000, v1
	v_and_b32_e32 v18, 0x7fffff, v1
	;; [unrolled: 1-line block ×3, first 2 shown]
	s_delay_alu instid0(VALU_DEP_1) | instskip(NEXT) | instid1(VALU_DEP_4)
	v_or_b32_e32 v2, 0x7e, v5
	v_cmpx_ne_u64_e32 0x7f800000, v[11:12]
	s_xor_b32 s5, exec_lo, s0
	s_cbranch_execz .LBB30_109
; %bb.96:                               ;   in Loop: Header=BB30_15 Depth=1
	v_dual_mov_b32 v12, v19 :: v_dual_and_b32 v11, 0x7fffffff, v1
	s_mov_b32 s0, exec_lo
	s_delay_alu instid0(VALU_DEP_1)
	v_cmpx_gt_u64_e32 0x43e00001, v[11:12]
	s_xor_b32 s6, exec_lo, s0
	s_cbranch_execz .LBB30_108
; %bb.97:                               ;   in Loop: Header=BB30_15 Depth=1
	v_mov_b32_e32 v2, 0
	s_mov_b32 s7, exec_lo
	v_cmpx_ne_u32_e32 0, v1
	s_cbranch_execz .LBB30_107
; %bb.98:                               ;   in Loop: Header=BB30_15 Depth=1
	v_bfe_u32 v6, v1, 23, 8
	s_delay_alu instid0(VALU_DEP_1) | instskip(SKIP_2) | instid1(VALU_DEP_3)
	v_sub_nc_u32_e64 v1, 0x79, v6 clamp
	v_cmp_eq_u32_e32 vcc_lo, 0, v6
	v_add_nc_u32_e32 v6, 0xffffff88, v6
	v_cndmask_b32_e64 v15, v1, 0x78, vcc_lo
	v_or_b32_e32 v1, 0x800000, v18
	s_delay_alu instid0(VALU_DEP_2) | instskip(NEXT) | instid1(VALU_DEP_2)
	v_add_nc_u32_e32 v2, 20, v15
	v_dual_cndmask_b32 v18, v1, v18 :: v_dual_add_nc_u32 v11, 19, v15
	s_delay_alu instid0(VALU_DEP_2) | instskip(NEXT) | instid1(VALU_DEP_2)
	v_lshlrev_b64 v[1:2], v2, -1
	v_lshrrev_b64 v[13:14], v15, v[18:19]
	s_delay_alu instid0(VALU_DEP_2) | instskip(NEXT) | instid1(VALU_DEP_3)
	v_not_b32_e32 v12, v2
	v_not_b32_e32 v16, v1
	v_lshlrev_b64 v[1:2], v11, 1
	s_delay_alu instid0(VALU_DEP_3) | instskip(NEXT) | instid1(VALU_DEP_3)
	v_and_b32_e32 v12, 0, v12
	v_and_b32_e32 v11, v18, v16
	;; [unrolled: 1-line block ×3, first 2 shown]
	s_delay_alu instid0(VALU_DEP_2) | instskip(NEXT) | instid1(VALU_DEP_2)
	v_cmp_eq_u64_e64 s0, v[11:12], v[1:2]
	v_cmp_eq_u64_e64 s1, 0, v[18:19]
	v_cndmask_b32_e64 v1, v6, 0xffffff89, vcc_lo
	v_lshrrev_b32_e32 v2, 23, v13
	s_delay_alu instid0(VALU_DEP_3) | instskip(NEXT) | instid1(VALU_DEP_1)
	s_and_b32 vcc_lo, s1, s0
	v_add3_u32 v11, v1, v15, v2
	v_subrev_co_ci_u32_e32 v6, vcc_lo, 0, v13, vcc_lo
	s_mov_b32 s0, exec_lo
	s_delay_alu instid0(VALU_DEP_2) | instskip(NEXT) | instid1(VALU_DEP_2)
	v_add_nc_u32_e32 v12, -1, v11
	v_and_b32_e32 v1, 0xfffff, v6
                                        ; implicit-def: $vgpr6
	s_delay_alu instid0(VALU_DEP_1) | instskip(SKIP_1) | instid1(VALU_DEP_4)
	v_add_co_u32 v1, vcc_lo, v1, v13
	v_add_co_ci_u32_e32 v2, vcc_lo, 0, v14, vcc_lo
	v_cmpx_ne_u32_e32 0, v12
	s_xor_b32 s0, exec_lo, s0
; %bb.99:                               ;   in Loop: Header=BB30_15 Depth=1
	s_delay_alu instid0(VALU_DEP_3) | instskip(SKIP_1) | instid1(VALU_DEP_2)
	v_and_b32_e32 v18, 0x1000000, v1
	v_bfe_u32 v6, v1, 24, 1
	v_cmp_eq_u64_e32 vcc_lo, 0, v[18:19]
	s_delay_alu instid0(VALU_DEP_2)
	v_lshrrev_b64 v[1:2], v6, v[1:2]
	v_cndmask_b32_e32 v6, v11, v12, vcc_lo
; %bb.100:                              ;   in Loop: Header=BB30_15 Depth=1
	s_and_not1_saveexec_b32 s0, s0
; %bb.101:                              ;   in Loop: Header=BB30_15 Depth=1
	s_delay_alu instid0(VALU_DEP_2)
	v_bfe_u32 v6, v1, 23, 1
; %bb.102:                              ;   in Loop: Header=BB30_15 Depth=1
	s_or_b32 exec_lo, exec_lo, s0
	s_delay_alu instid0(VALU_DEP_3) | instskip(NEXT) | instid1(VALU_DEP_2)
	v_lshrrev_b64 v[1:2], 20, v[1:2]
	v_cmp_gt_i32_e32 vcc_lo, 16, v6
	v_cmp_ne_u32_e64 s0, 0, v6
	s_delay_alu instid0(VALU_DEP_3) | instskip(NEXT) | instid1(VALU_DEP_1)
	v_dual_cndmask_b32 v2, 0, v2 :: v_dual_cndmask_b32 v1, 7, v1
	v_cmp_ne_u64_e32 vcc_lo, 0, v[1:2]
                                        ; implicit-def: $vgpr2
	s_delay_alu instid0(VALU_DEP_3) | instskip(NEXT) | instid1(SALU_CYCLE_1)
	s_or_b32 s0, s0, vcc_lo
	s_and_saveexec_b32 s1, s0
	s_delay_alu instid0(SALU_CYCLE_1)
	s_xor_b32 s0, exec_lo, s1
; %bb.103:                              ;   in Loop: Header=BB30_15 Depth=1
	v_min_i32_e32 v2, 15, v6
	s_delay_alu instid0(VALU_DEP_1) | instskip(NEXT) | instid1(VALU_DEP_1)
	v_lshl_or_b32 v2, v2, 3, v5
                                        ; implicit-def: $vgpr5
	v_and_or_b32 v2, v1, 7, v2
; %bb.104:                              ;   in Loop: Header=BB30_15 Depth=1
	s_and_not1_saveexec_b32 s0, s0
; %bb.105:                              ;   in Loop: Header=BB30_15 Depth=1
	v_mov_b32_e32 v2, v5
; %bb.106:                              ;   in Loop: Header=BB30_15 Depth=1
	s_or_b32 exec_lo, exec_lo, s0
.LBB30_107:                             ;   in Loop: Header=BB30_15 Depth=1
	s_delay_alu instid0(SALU_CYCLE_1)
	s_or_b32 exec_lo, exec_lo, s7
.LBB30_108:                             ;   in Loop: Header=BB30_15 Depth=1
	s_and_not1_saveexec_b32 s0, s6
	s_delay_alu instid0(SALU_CYCLE_1)
	s_or_b32 exec_lo, exec_lo, s0
                                        ; implicit-def: $vgpr6
.LBB30_109:                             ;   in Loop: Header=BB30_15 Depth=1
	s_and_not1_saveexec_b32 s0, s5
; %bb.110:                              ;   in Loop: Header=BB30_15 Depth=1
	v_cmp_eq_u64_e32 vcc_lo, 0, v[18:19]
	v_or_b32_e32 v1, 0x7f, v6
	s_delay_alu instid0(VALU_DEP_1)
	v_cndmask_b32_e32 v2, v1, v2, vcc_lo
; %bb.111:                              ;   in Loop: Header=BB30_15 Depth=1
	s_or_b32 exec_lo, exec_lo, s0
	v_mul_f32_e32 v1, v3, v28
	global_store_b8 v[9:10], v2, off offset:5
	s_mov_b32 s0, exec_lo
	v_dual_mov_b32 v12, v19 :: v_dual_mul_f32 v1, v1, v7
	s_delay_alu instid0(VALU_DEP_1) | instskip(NEXT) | instid1(VALU_DEP_1)
	v_mul_f32_e32 v1, v29, v1
	v_minmax_f32 v1, v1, s4, 0xc3e00000
	s_delay_alu instid0(VALU_DEP_1) | instskip(SKIP_2) | instid1(VALU_DEP_3)
	v_lshrrev_b32_e32 v6, 24, v1
	v_and_b32_e32 v11, 0x7f800000, v1
	v_and_b32_e32 v18, 0x7fffff, v1
	;; [unrolled: 1-line block ×3, first 2 shown]
	s_delay_alu instid0(VALU_DEP_1) | instskip(NEXT) | instid1(VALU_DEP_4)
	v_or_b32_e32 v5, 0x7e, v3
	v_cmpx_ne_u64_e32 0x7f800000, v[11:12]
	s_xor_b32 s5, exec_lo, s0
	s_cbranch_execz .LBB30_125
; %bb.112:                              ;   in Loop: Header=BB30_15 Depth=1
	v_dual_mov_b32 v7, v19 :: v_dual_and_b32 v6, 0x7fffffff, v1
	s_mov_b32 s0, exec_lo
	s_delay_alu instid0(VALU_DEP_1)
	v_cmpx_gt_u64_e32 0x43e00001, v[6:7]
	s_xor_b32 s6, exec_lo, s0
	s_cbranch_execz .LBB30_124
; %bb.113:                              ;   in Loop: Header=BB30_15 Depth=1
	v_mov_b32_e32 v5, 0
	s_mov_b32 s7, exec_lo
	v_cmpx_ne_u32_e32 0, v1
	s_cbranch_execz .LBB30_123
; %bb.114:                              ;   in Loop: Header=BB30_15 Depth=1
	v_bfe_u32 v7, v1, 23, 8
	s_delay_alu instid0(VALU_DEP_1) | instskip(SKIP_2) | instid1(VALU_DEP_3)
	v_sub_nc_u32_e64 v1, 0x79, v7 clamp
	v_cmp_eq_u32_e32 vcc_lo, 0, v7
	v_add_nc_u32_e32 v7, 0xffffff88, v7
	v_cndmask_b32_e64 v13, v1, 0x78, vcc_lo
	v_or_b32_e32 v1, 0x800000, v18
	s_delay_alu instid0(VALU_DEP_2) | instskip(NEXT) | instid1(VALU_DEP_2)
	v_add_nc_u32_e32 v2, 20, v13
	v_dual_cndmask_b32 v18, v1, v18 :: v_dual_add_nc_u32 v5, 19, v13
	s_delay_alu instid0(VALU_DEP_2) | instskip(NEXT) | instid1(VALU_DEP_2)
	v_lshlrev_b64 v[1:2], v2, -1
	v_lshrrev_b64 v[11:12], v13, v[18:19]
	s_delay_alu instid0(VALU_DEP_2) | instskip(NEXT) | instid1(VALU_DEP_3)
	v_not_b32_e32 v6, v2
	v_not_b32_e32 v14, v1
	v_lshlrev_b64 v[1:2], v5, 1
	s_delay_alu instid0(VALU_DEP_3) | instskip(NEXT) | instid1(VALU_DEP_3)
	v_and_b32_e32 v6, 0, v6
	v_and_b32_e32 v5, v18, v14
	;; [unrolled: 1-line block ×3, first 2 shown]
	s_delay_alu instid0(VALU_DEP_2) | instskip(NEXT) | instid1(VALU_DEP_2)
	v_cmp_eq_u64_e64 s0, v[5:6], v[1:2]
	v_cmp_eq_u64_e64 s1, 0, v[18:19]
	v_cndmask_b32_e64 v1, v7, 0xffffff89, vcc_lo
	v_lshrrev_b32_e32 v2, 23, v11
	s_delay_alu instid0(VALU_DEP_3) | instskip(NEXT) | instid1(VALU_DEP_1)
	s_and_b32 vcc_lo, s1, s0
	v_add3_u32 v5, v1, v13, v2
	v_subrev_co_ci_u32_e32 v6, vcc_lo, 0, v11, vcc_lo
	s_mov_b32 s0, exec_lo
	s_delay_alu instid0(VALU_DEP_2) | instskip(NEXT) | instid1(VALU_DEP_2)
	v_add_nc_u32_e32 v7, -1, v5
	v_and_b32_e32 v1, 0xfffff, v6
                                        ; implicit-def: $vgpr6
	s_delay_alu instid0(VALU_DEP_1) | instskip(SKIP_1) | instid1(VALU_DEP_4)
	v_add_co_u32 v1, vcc_lo, v1, v11
	v_add_co_ci_u32_e32 v2, vcc_lo, 0, v12, vcc_lo
	v_cmpx_ne_u32_e32 0, v7
	s_xor_b32 s0, exec_lo, s0
; %bb.115:                              ;   in Loop: Header=BB30_15 Depth=1
	s_delay_alu instid0(VALU_DEP_3) | instskip(SKIP_1) | instid1(VALU_DEP_2)
	v_and_b32_e32 v18, 0x1000000, v1
	v_bfe_u32 v6, v1, 24, 1
	v_cmp_eq_u64_e32 vcc_lo, 0, v[18:19]
	s_delay_alu instid0(VALU_DEP_2)
	v_lshrrev_b64 v[1:2], v6, v[1:2]
	v_cndmask_b32_e32 v6, v5, v7, vcc_lo
; %bb.116:                              ;   in Loop: Header=BB30_15 Depth=1
	s_and_not1_saveexec_b32 s0, s0
; %bb.117:                              ;   in Loop: Header=BB30_15 Depth=1
	s_delay_alu instid0(VALU_DEP_2)
	v_bfe_u32 v6, v1, 23, 1
; %bb.118:                              ;   in Loop: Header=BB30_15 Depth=1
	s_or_b32 exec_lo, exec_lo, s0
	s_delay_alu instid0(VALU_DEP_3) | instskip(NEXT) | instid1(VALU_DEP_2)
	v_lshrrev_b64 v[1:2], 20, v[1:2]
	v_cmp_gt_i32_e32 vcc_lo, 16, v6
	v_cmp_ne_u32_e64 s0, 0, v6
                                        ; implicit-def: $vgpr5
	s_delay_alu instid0(VALU_DEP_3) | instskip(NEXT) | instid1(VALU_DEP_1)
	v_dual_cndmask_b32 v2, 0, v2 :: v_dual_cndmask_b32 v1, 7, v1
	v_cmp_ne_u64_e32 vcc_lo, 0, v[1:2]
	s_delay_alu instid0(VALU_DEP_3) | instskip(NEXT) | instid1(SALU_CYCLE_1)
	s_or_b32 s0, s0, vcc_lo
	s_and_saveexec_b32 s1, s0
	s_delay_alu instid0(SALU_CYCLE_1)
	s_xor_b32 s0, exec_lo, s1
; %bb.119:                              ;   in Loop: Header=BB30_15 Depth=1
	v_min_i32_e32 v2, 15, v6
	s_delay_alu instid0(VALU_DEP_1) | instskip(NEXT) | instid1(VALU_DEP_1)
	v_lshl_or_b32 v2, v2, 3, v3
                                        ; implicit-def: $vgpr3
	v_and_or_b32 v5, v1, 7, v2
; %bb.120:                              ;   in Loop: Header=BB30_15 Depth=1
	s_and_not1_saveexec_b32 s0, s0
; %bb.121:                              ;   in Loop: Header=BB30_15 Depth=1
	v_mov_b32_e32 v5, v3
; %bb.122:                              ;   in Loop: Header=BB30_15 Depth=1
	s_or_b32 exec_lo, exec_lo, s0
.LBB30_123:                             ;   in Loop: Header=BB30_15 Depth=1
	s_delay_alu instid0(SALU_CYCLE_1)
	s_or_b32 exec_lo, exec_lo, s7
.LBB30_124:                             ;   in Loop: Header=BB30_15 Depth=1
	s_and_not1_saveexec_b32 s0, s6
	s_delay_alu instid0(SALU_CYCLE_1)
	s_or_b32 exec_lo, exec_lo, s0
                                        ; implicit-def: $vgpr6
.LBB30_125:                             ;   in Loop: Header=BB30_15 Depth=1
	s_and_not1_saveexec_b32 s0, s5
; %bb.126:                              ;   in Loop: Header=BB30_15 Depth=1
	v_cmp_eq_u64_e32 vcc_lo, 0, v[18:19]
	v_or_b32_e32 v1, 0x7f, v6
	s_delay_alu instid0(VALU_DEP_1)
	v_cndmask_b32_e32 v5, v1, v5, vcc_lo
; %bb.127:                              ;   in Loop: Header=BB30_15 Depth=1
	s_or_b32 exec_lo, exec_lo, s0
	v_mul_f32_e32 v1, v4, v28
	global_store_b8 v[9:10], v5, off offset:6
	s_mov_b32 s0, exec_lo
	v_mov_b32_e32 v7, v19
	v_mul_f32_e32 v1, v1, v8
	s_delay_alu instid0(VALU_DEP_1) | instskip(NEXT) | instid1(VALU_DEP_1)
	v_mul_f32_e32 v1, v29, v1
	v_minmax_f32 v1, v1, s4, 0xc3e00000
	s_delay_alu instid0(VALU_DEP_1) | instskip(SKIP_2) | instid1(VALU_DEP_3)
	v_lshrrev_b32_e32 v4, 24, v1
	v_and_b32_e32 v6, 0x7f800000, v1
	v_and_b32_e32 v18, 0x7fffff, v1
	;; [unrolled: 1-line block ×3, first 2 shown]
	s_delay_alu instid0(VALU_DEP_1) | instskip(NEXT) | instid1(VALU_DEP_4)
	v_or_b32_e32 v2, 0x7e, v3
	v_cmpx_ne_u64_e32 0x7f800000, v[6:7]
	s_xor_b32 s5, exec_lo, s0
	s_cbranch_execz .LBB30_141
; %bb.128:                              ;   in Loop: Header=BB30_15 Depth=1
	v_dual_mov_b32 v5, v19 :: v_dual_and_b32 v4, 0x7fffffff, v1
	s_mov_b32 s0, exec_lo
	s_delay_alu instid0(VALU_DEP_1)
	v_cmpx_gt_u64_e32 0x43e00001, v[4:5]
	s_xor_b32 s6, exec_lo, s0
	s_cbranch_execz .LBB30_140
; %bb.129:                              ;   in Loop: Header=BB30_15 Depth=1
	v_mov_b32_e32 v2, 0
	s_mov_b32 s7, exec_lo
	v_cmpx_ne_u32_e32 0, v1
	s_cbranch_execz .LBB30_139
; %bb.130:                              ;   in Loop: Header=BB30_15 Depth=1
	v_bfe_u32 v6, v1, 23, 8
	s_delay_alu instid0(VALU_DEP_1) | instskip(SKIP_2) | instid1(VALU_DEP_3)
	v_sub_nc_u32_e64 v1, 0x79, v6 clamp
	v_cmp_eq_u32_e32 vcc_lo, 0, v6
	v_add_nc_u32_e32 v6, 0xffffff88, v6
	v_cndmask_b32_e64 v11, v1, 0x78, vcc_lo
	v_or_b32_e32 v1, 0x800000, v18
	s_delay_alu instid0(VALU_DEP_2) | instskip(NEXT) | instid1(VALU_DEP_2)
	v_add_nc_u32_e32 v2, 20, v11
	v_cndmask_b32_e32 v18, v1, v18, vcc_lo
	v_add_nc_u32_e32 v4, 19, v11
	s_delay_alu instid0(VALU_DEP_3) | instskip(NEXT) | instid1(VALU_DEP_1)
	v_lshlrev_b64 v[1:2], v2, -1
	v_not_b32_e32 v5, v2
	s_delay_alu instid0(VALU_DEP_2) | instskip(NEXT) | instid1(VALU_DEP_4)
	v_not_b32_e32 v12, v1
	v_lshlrev_b64 v[1:2], v4, 1
	s_delay_alu instid0(VALU_DEP_3) | instskip(SKIP_1) | instid1(VALU_DEP_4)
	v_and_b32_e32 v5, 0, v5
	v_lshrrev_b64 v[7:8], v11, v[18:19]
	v_and_b32_e32 v4, v18, v12
	s_delay_alu instid0(VALU_DEP_1) | instskip(NEXT) | instid1(VALU_DEP_3)
	v_cmp_eq_u64_e64 s0, v[4:5], v[1:2]
	v_and_b32_e32 v18, 0x100000, v7
	v_cndmask_b32_e64 v1, v6, 0xffffff89, vcc_lo
	v_lshrrev_b32_e32 v2, 23, v7
	s_delay_alu instid0(VALU_DEP_3) | instskip(NEXT) | instid1(VALU_DEP_2)
	v_cmp_eq_u64_e64 s1, 0, v[18:19]
	v_add3_u32 v5, v1, v11, v2
	s_delay_alu instid0(VALU_DEP_2) | instskip(NEXT) | instid1(VALU_DEP_1)
	s_and_b32 vcc_lo, s1, s0
	v_add_nc_u32_e32 v6, -1, v5
	v_subrev_co_ci_u32_e32 v4, vcc_lo, 0, v7, vcc_lo
	s_mov_b32 s0, exec_lo
	s_delay_alu instid0(VALU_DEP_1) | instskip(NEXT) | instid1(VALU_DEP_1)
	v_and_b32_e32 v1, 0xfffff, v4
                                        ; implicit-def: $vgpr4
	v_add_co_u32 v1, vcc_lo, v1, v7
	v_add_co_ci_u32_e32 v2, vcc_lo, 0, v8, vcc_lo
	v_cmpx_ne_u32_e32 0, v6
	s_xor_b32 s0, exec_lo, s0
; %bb.131:                              ;   in Loop: Header=BB30_15 Depth=1
	s_delay_alu instid0(VALU_DEP_3) | instskip(SKIP_1) | instid1(VALU_DEP_2)
	v_and_b32_e32 v18, 0x1000000, v1
	v_bfe_u32 v4, v1, 24, 1
	v_cmp_eq_u64_e32 vcc_lo, 0, v[18:19]
	s_delay_alu instid0(VALU_DEP_2)
	v_lshrrev_b64 v[1:2], v4, v[1:2]
	v_cndmask_b32_e32 v4, v5, v6, vcc_lo
; %bb.132:                              ;   in Loop: Header=BB30_15 Depth=1
	s_and_not1_saveexec_b32 s0, s0
; %bb.133:                              ;   in Loop: Header=BB30_15 Depth=1
	s_delay_alu instid0(VALU_DEP_2)
	v_bfe_u32 v4, v1, 23, 1
; %bb.134:                              ;   in Loop: Header=BB30_15 Depth=1
	s_or_b32 exec_lo, exec_lo, s0
	s_delay_alu instid0(VALU_DEP_3) | instskip(NEXT) | instid1(VALU_DEP_2)
	v_lshrrev_b64 v[1:2], 20, v[1:2]
	v_cmp_gt_i32_e32 vcc_lo, 16, v4
	v_cmp_ne_u32_e64 s0, 0, v4
	s_delay_alu instid0(VALU_DEP_3) | instskip(NEXT) | instid1(VALU_DEP_1)
	v_dual_cndmask_b32 v2, 0, v2 :: v_dual_cndmask_b32 v1, 7, v1
	v_cmp_ne_u64_e32 vcc_lo, 0, v[1:2]
                                        ; implicit-def: $vgpr2
	s_delay_alu instid0(VALU_DEP_3) | instskip(NEXT) | instid1(SALU_CYCLE_1)
	s_or_b32 s0, s0, vcc_lo
	s_and_saveexec_b32 s1, s0
	s_delay_alu instid0(SALU_CYCLE_1)
	s_xor_b32 s0, exec_lo, s1
; %bb.135:                              ;   in Loop: Header=BB30_15 Depth=1
	v_min_i32_e32 v2, 15, v4
	s_delay_alu instid0(VALU_DEP_1) | instskip(NEXT) | instid1(VALU_DEP_1)
	v_lshl_or_b32 v2, v2, 3, v3
                                        ; implicit-def: $vgpr3
	v_and_or_b32 v2, v1, 7, v2
; %bb.136:                              ;   in Loop: Header=BB30_15 Depth=1
	s_and_not1_saveexec_b32 s0, s0
; %bb.137:                              ;   in Loop: Header=BB30_15 Depth=1
	v_mov_b32_e32 v2, v3
; %bb.138:                              ;   in Loop: Header=BB30_15 Depth=1
	s_or_b32 exec_lo, exec_lo, s0
.LBB30_139:                             ;   in Loop: Header=BB30_15 Depth=1
	s_delay_alu instid0(SALU_CYCLE_1)
	s_or_b32 exec_lo, exec_lo, s7
.LBB30_140:                             ;   in Loop: Header=BB30_15 Depth=1
	s_and_not1_saveexec_b32 s0, s6
	s_delay_alu instid0(SALU_CYCLE_1)
	s_or_b32 exec_lo, exec_lo, s0
                                        ; implicit-def: $vgpr4
.LBB30_141:                             ;   in Loop: Header=BB30_15 Depth=1
	s_and_not1_saveexec_b32 s0, s5
	s_cbranch_execz .LBB30_14
; %bb.142:                              ;   in Loop: Header=BB30_15 Depth=1
	v_cmp_eq_u64_e32 vcc_lo, 0, v[18:19]
	v_or_b32_e32 v1, 0x7f, v4
	s_delay_alu instid0(VALU_DEP_1)
	v_cndmask_b32_e32 v2, v1, v2, vcc_lo
	s_branch .LBB30_14
.LBB30_143:
	s_nop 0
	s_sendmsg sendmsg(MSG_DEALLOC_VGPRS)
	s_endpgm
	.section	.rodata,"a",@progbits
	.p2align	6, 0x0
	.amdhsa_kernel _ZN4vllm42fused_add_rms_norm_static_fp8_quant_kernelIfLi8EN3c1013Float8_e4m3fnEEENSt9enable_ifIXaagtT0_Li0Esr12_typeConvertIT_EE6existsEvE4typeEPT1_PS4_iS9_PKS4_PKffii
		.amdhsa_group_segment_fixed_size 132
		.amdhsa_private_segment_fixed_size 0
		.amdhsa_kernarg_size 320
		.amdhsa_user_sgpr_count 15
		.amdhsa_user_sgpr_dispatch_ptr 0
		.amdhsa_user_sgpr_queue_ptr 0
		.amdhsa_user_sgpr_kernarg_segment_ptr 1
		.amdhsa_user_sgpr_dispatch_id 0
		.amdhsa_user_sgpr_private_segment_size 0
		.amdhsa_wavefront_size32 1
		.amdhsa_uses_dynamic_stack 0
		.amdhsa_enable_private_segment 0
		.amdhsa_system_sgpr_workgroup_id_x 1
		.amdhsa_system_sgpr_workgroup_id_y 0
		.amdhsa_system_sgpr_workgroup_id_z 0
		.amdhsa_system_sgpr_workgroup_info 0
		.amdhsa_system_vgpr_workitem_id 0
		.amdhsa_next_free_vgpr 36
		.amdhsa_next_free_sgpr 21
		.amdhsa_reserve_vcc 1
		.amdhsa_float_round_mode_32 0
		.amdhsa_float_round_mode_16_64 0
		.amdhsa_float_denorm_mode_32 3
		.amdhsa_float_denorm_mode_16_64 3
		.amdhsa_dx10_clamp 1
		.amdhsa_ieee_mode 1
		.amdhsa_fp16_overflow 0
		.amdhsa_workgroup_processor_mode 1
		.amdhsa_memory_ordered 1
		.amdhsa_forward_progress 0
		.amdhsa_shared_vgpr_count 0
		.amdhsa_exception_fp_ieee_invalid_op 0
		.amdhsa_exception_fp_denorm_src 0
		.amdhsa_exception_fp_ieee_div_zero 0
		.amdhsa_exception_fp_ieee_overflow 0
		.amdhsa_exception_fp_ieee_underflow 0
		.amdhsa_exception_fp_ieee_inexact 0
		.amdhsa_exception_int_div_zero 0
	.end_amdhsa_kernel
	.section	.text._ZN4vllm42fused_add_rms_norm_static_fp8_quant_kernelIfLi8EN3c1013Float8_e4m3fnEEENSt9enable_ifIXaagtT0_Li0Esr12_typeConvertIT_EE6existsEvE4typeEPT1_PS4_iS9_PKS4_PKffii,"axG",@progbits,_ZN4vllm42fused_add_rms_norm_static_fp8_quant_kernelIfLi8EN3c1013Float8_e4m3fnEEENSt9enable_ifIXaagtT0_Li0Esr12_typeConvertIT_EE6existsEvE4typeEPT1_PS4_iS9_PKS4_PKffii,comdat
.Lfunc_end30:
	.size	_ZN4vllm42fused_add_rms_norm_static_fp8_quant_kernelIfLi8EN3c1013Float8_e4m3fnEEENSt9enable_ifIXaagtT0_Li0Esr12_typeConvertIT_EE6existsEvE4typeEPT1_PS4_iS9_PKS4_PKffii, .Lfunc_end30-_ZN4vllm42fused_add_rms_norm_static_fp8_quant_kernelIfLi8EN3c1013Float8_e4m3fnEEENSt9enable_ifIXaagtT0_Li0Esr12_typeConvertIT_EE6existsEvE4typeEPT1_PS4_iS9_PKS4_PKffii
                                        ; -- End function
	.section	.AMDGPU.csdata,"",@progbits
; Kernel info:
; codeLenInByte = 6372
; NumSgprs: 23
; NumVgprs: 36
; ScratchSize: 0
; MemoryBound: 1
; FloatMode: 240
; IeeeMode: 1
; LDSByteSize: 132 bytes/workgroup (compile time only)
; SGPRBlocks: 2
; VGPRBlocks: 4
; NumSGPRsForWavesPerEU: 23
; NumVGPRsForWavesPerEU: 36
; Occupancy: 16
; WaveLimiterHint : 0
; COMPUTE_PGM_RSRC2:SCRATCH_EN: 0
; COMPUTE_PGM_RSRC2:USER_SGPR: 15
; COMPUTE_PGM_RSRC2:TRAP_HANDLER: 0
; COMPUTE_PGM_RSRC2:TGID_X_EN: 1
; COMPUTE_PGM_RSRC2:TGID_Y_EN: 0
; COMPUTE_PGM_RSRC2:TGID_Z_EN: 0
; COMPUTE_PGM_RSRC2:TIDIG_COMP_CNT: 0
	.section	.text._ZN4vllm42fused_add_rms_norm_static_fp8_quant_kernelIfLi8EN3c1015Float8_e4m3fnuzEEENSt9enable_ifIXaagtT0_Li0Esr12_typeConvertIT_EE6existsEvE4typeEPT1_PS4_iS9_PKS4_PKffii,"axG",@progbits,_ZN4vllm42fused_add_rms_norm_static_fp8_quant_kernelIfLi8EN3c1015Float8_e4m3fnuzEEENSt9enable_ifIXaagtT0_Li0Esr12_typeConvertIT_EE6existsEvE4typeEPT1_PS4_iS9_PKS4_PKffii,comdat
	.protected	_ZN4vllm42fused_add_rms_norm_static_fp8_quant_kernelIfLi8EN3c1015Float8_e4m3fnuzEEENSt9enable_ifIXaagtT0_Li0Esr12_typeConvertIT_EE6existsEvE4typeEPT1_PS4_iS9_PKS4_PKffii ; -- Begin function _ZN4vllm42fused_add_rms_norm_static_fp8_quant_kernelIfLi8EN3c1015Float8_e4m3fnuzEEENSt9enable_ifIXaagtT0_Li0Esr12_typeConvertIT_EE6existsEvE4typeEPT1_PS4_iS9_PKS4_PKffii
	.globl	_ZN4vllm42fused_add_rms_norm_static_fp8_quant_kernelIfLi8EN3c1015Float8_e4m3fnuzEEENSt9enable_ifIXaagtT0_Li0Esr12_typeConvertIT_EE6existsEvE4typeEPT1_PS4_iS9_PKS4_PKffii
	.p2align	8
	.type	_ZN4vllm42fused_add_rms_norm_static_fp8_quant_kernelIfLi8EN3c1015Float8_e4m3fnuzEEENSt9enable_ifIXaagtT0_Li0Esr12_typeConvertIT_EE6existsEvE4typeEPT1_PS4_iS9_PKS4_PKffii,@function
_ZN4vllm42fused_add_rms_norm_static_fp8_quant_kernelIfLi8EN3c1015Float8_e4m3fnuzEEENSt9enable_ifIXaagtT0_Li0Esr12_typeConvertIT_EE6existsEvE4typeEPT1_PS4_iS9_PKS4_PKffii: ; @_ZN4vllm42fused_add_rms_norm_static_fp8_quant_kernelIfLi8EN3c1015Float8_e4m3fnuzEEENSt9enable_ifIXaagtT0_Li0Esr12_typeConvertIT_EE6existsEvE4typeEPT1_PS4_iS9_PKS4_PKffii
; %bb.0:
	s_clause 0x1
	s_load_b32 s16, s[0:1], 0x38
	s_load_b64 s[8:9], s[0:1], 0x18
	s_mov_b32 s4, exec_lo
                                        ; implicit-def: $sgpr13
                                        ; implicit-def: $sgpr12
	s_waitcnt lgkmcnt(0)
	s_ashr_i32 s2, s16, 31
	s_delay_alu instid0(SALU_CYCLE_1) | instskip(NEXT) | instid1(SALU_CYCLE_1)
	s_lshr_b32 s2, s2, 29
	s_add_i32 s2, s16, s2
	s_delay_alu instid0(SALU_CYCLE_1) | instskip(NEXT) | instid1(SALU_CYCLE_1)
	s_ashr_i32 s3, s2, 3
	v_cmp_gt_i32_e64 s2, s3, v0
	v_cmpx_le_i32_e64 s3, v0
	s_xor_b32 s4, exec_lo, s4
	s_cbranch_execz .LBB31_2
; %bb.1:
	s_load_b32 s5, s[0:1], 0x4c
	s_mov_b32 s13, 0
	s_waitcnt lgkmcnt(0)
	s_and_b32 s12, s5, 0xffff
.LBB31_2:
	s_or_saveexec_b32 s17, s4
	s_clause 0x1
	s_load_b64 s[10:11], s[0:1], 0x0
	s_load_b128 s[4:7], s[0:1], 0x20
	v_mov_b32_e32 v1, s13
	v_mov_b32_e32 v17, s12
	s_mul_i32 s14, s3, s15
	s_xor_b32 exec_lo, exec_lo, s17
	s_cbranch_execz .LBB31_6
; %bb.3:
	s_clause 0x2
	s_load_b32 s18, s[0:1], 0x10
	s_load_b32 s19, s[0:1], 0x4c
	s_load_b64 s[12:13], s[0:1], 0x8
	v_dual_mov_b32 v1, 0 :: v_dual_mov_b32 v2, v0
	s_waitcnt lgkmcnt(0)
	s_ashr_i32 s20, s18, 31
	s_delay_alu instid0(SALU_CYCLE_1) | instskip(NEXT) | instid1(SALU_CYCLE_1)
	s_lshr_b32 s20, s20, 29
	s_add_i32 s18, s18, s20
	s_delay_alu instid0(SALU_CYCLE_1)
	s_ashr_i32 s20, s18, 3
	s_and_b32 s18, s19, 0xffff
	s_mul_i32 s19, s20, s15
	s_mov_b32 s15, 0
.LBB31_4:                               ; =>This Inner Loop Header: Depth=1
	v_add_nc_u32_e32 v3, s19, v2
	v_add_nc_u32_e32 v5, s14, v2
	;; [unrolled: 1-line block ×3, first 2 shown]
	s_delay_alu instid0(VALU_DEP_3) | instskip(NEXT) | instid1(VALU_DEP_3)
	v_ashrrev_i32_e32 v4, 31, v3
	v_ashrrev_i32_e32 v6, 31, v5
	s_delay_alu instid0(VALU_DEP_2) | instskip(NEXT) | instid1(VALU_DEP_2)
	v_lshlrev_b64 v[3:4], 5, v[3:4]
	v_lshlrev_b64 v[5:6], 5, v[5:6]
	s_delay_alu instid0(VALU_DEP_2) | instskip(NEXT) | instid1(VALU_DEP_3)
	v_add_co_u32 v11, vcc_lo, s12, v3
	v_add_co_ci_u32_e32 v12, vcc_lo, s13, v4, vcc_lo
	s_delay_alu instid0(VALU_DEP_3) | instskip(NEXT) | instid1(VALU_DEP_4)
	v_add_co_u32 v19, vcc_lo, s8, v5
	v_add_co_ci_u32_e32 v20, vcc_lo, s9, v6, vcc_lo
	global_load_b128 v[3:6], v[11:12], off
	global_load_b128 v[7:10], v[19:20], off
	global_load_b128 v[11:14], v[11:12], off offset:16
	global_load_b128 v[15:18], v[19:20], off offset:16
	v_cmp_le_i32_e32 vcc_lo, s3, v2
	s_or_b32 s15, vcc_lo, s15
	s_waitcnt vmcnt(2)
	v_add_f32_e32 v4, v4, v8
	v_dual_add_f32 v6, v6, v10 :: v_dual_add_f32 v3, v3, v7
	s_waitcnt vmcnt(0)
	v_dual_add_f32 v5, v5, v9 :: v_dual_add_f32 v8, v12, v16
	s_delay_alu instid0(VALU_DEP_3) | instskip(NEXT) | instid1(VALU_DEP_3)
	v_mul_f32_e32 v12, v4, v4
	v_dual_mul_f32 v16, v6, v6 :: v_dual_add_f32 v7, v11, v15
	s_delay_alu instid0(VALU_DEP_3) | instskip(NEXT) | instid1(VALU_DEP_3)
	v_dual_add_f32 v10, v14, v18 :: v_dual_mul_f32 v11, v8, v8
	v_dual_fmac_f32 v12, v3, v3 :: v_dual_add_f32 v9, v13, v17
	s_delay_alu instid0(VALU_DEP_2) | instskip(NEXT) | instid1(VALU_DEP_3)
	v_dual_fmac_f32 v16, v5, v5 :: v_dual_mul_f32 v13, v10, v10
	v_fmac_f32_e32 v11, v7, v7
	s_clause 0x1
	global_store_b128 v[19:20], v[3:6], off
	global_store_b128 v[19:20], v[7:10], off offset:16
	v_dual_add_f32 v12, v12, v16 :: v_dual_fmac_f32 v13, v9, v9
	s_delay_alu instid0(VALU_DEP_1) | instskip(NEXT) | instid1(VALU_DEP_1)
	v_add_f32_e32 v11, v12, v11
	v_add_f32_e32 v11, v11, v13
	s_delay_alu instid0(VALU_DEP_1)
	v_add_f32_e32 v1, v1, v11
	s_and_not1_b32 exec_lo, exec_lo, s15
	s_cbranch_execnz .LBB31_4
; %bb.5:
	s_or_b32 exec_lo, exec_lo, s15
	v_mov_b32_e32 v17, s18
.LBB31_6:
	s_or_b32 exec_lo, exec_lo, s17
	v_mbcnt_lo_u32_b32 v2, -1, 0
	s_mov_b32 s12, exec_lo
	s_delay_alu instid0(VALU_DEP_1) | instskip(SKIP_2) | instid1(VALU_DEP_2)
	v_cmp_ne_u32_e32 vcc_lo, 31, v2
	v_add_co_ci_u32_e32 v3, vcc_lo, 0, v2, vcc_lo
	v_cmp_gt_u32_e32 vcc_lo, 30, v2
	v_lshlrev_b32_e32 v3, 2, v3
	v_cndmask_b32_e64 v6, 0, 1, vcc_lo
	ds_bpermute_b32 v5, v3, v1
	s_waitcnt lgkmcnt(0)
	v_dual_add_f32 v7, v1, v5 :: v_dual_and_b32 v4, 0x3e0, v0
	s_delay_alu instid0(VALU_DEP_1) | instskip(SKIP_1) | instid1(VALU_DEP_1)
	v_sub_nc_u32_e64 v12, v17, v4 clamp
	v_add_nc_u32_e32 v4, 1, v2
	v_cmp_lt_u32_e32 vcc_lo, v4, v12
	s_delay_alu instid0(VALU_DEP_4) | instskip(NEXT) | instid1(VALU_DEP_1)
	v_dual_cndmask_b32 v7, v1, v7 :: v_dual_lshlrev_b32 v6, 1, v6
	v_add_lshl_u32 v5, v6, v2, 2
	v_cmp_gt_u32_e32 vcc_lo, 28, v2
	ds_bpermute_b32 v6, v5, v7
	v_cndmask_b32_e64 v1, 0, 1, vcc_lo
	s_delay_alu instid0(VALU_DEP_1) | instskip(SKIP_1) | instid1(VALU_DEP_1)
	v_lshlrev_b32_e32 v8, 2, v1
	v_add_nc_u32_e32 v1, 2, v2
	v_cmp_lt_u32_e32 vcc_lo, v1, v12
	s_waitcnt lgkmcnt(0)
	v_add_f32_e32 v9, v7, v6
	v_add_lshl_u32 v6, v8, v2, 2
	s_delay_alu instid0(VALU_DEP_2) | instskip(SKIP_3) | instid1(VALU_DEP_1)
	v_cndmask_b32_e32 v9, v7, v9, vcc_lo
	v_cmp_gt_u32_e32 vcc_lo, 24, v2
	ds_bpermute_b32 v8, v6, v9
	v_cndmask_b32_e64 v7, 0, 1, vcc_lo
	v_lshlrev_b32_e32 v10, 3, v7
	v_add_nc_u32_e32 v7, 4, v2
	s_delay_alu instid0(VALU_DEP_1) | instskip(SKIP_3) | instid1(VALU_DEP_2)
	v_cmp_lt_u32_e32 vcc_lo, v7, v12
	s_waitcnt lgkmcnt(0)
	v_add_f32_e32 v11, v9, v8
	v_add_lshl_u32 v8, v10, v2, 2
	v_cndmask_b32_e32 v11, v9, v11, vcc_lo
	v_cmp_gt_u32_e32 vcc_lo, 16, v2
	ds_bpermute_b32 v10, v8, v11
	v_cndmask_b32_e64 v9, 0, 1, vcc_lo
	s_delay_alu instid0(VALU_DEP_1) | instskip(SKIP_1) | instid1(VALU_DEP_1)
	v_lshlrev_b32_e32 v13, 4, v9
	v_add_nc_u32_e32 v9, 8, v2
	v_cmp_lt_u32_e32 vcc_lo, v9, v12
	s_waitcnt lgkmcnt(0)
	v_add_f32_e32 v14, v11, v10
	v_add_lshl_u32 v10, v13, v2, 2
	s_delay_alu instid0(VALU_DEP_2)
	v_cndmask_b32_e32 v13, v11, v14, vcc_lo
	v_add_nc_u32_e32 v11, 16, v2
	ds_bpermute_b32 v14, v10, v13
	v_cmp_lt_u32_e32 vcc_lo, v11, v12
	s_waitcnt lgkmcnt(0)
	v_add_f32_e32 v14, v13, v14
	s_delay_alu instid0(VALU_DEP_1)
	v_cndmask_b32_e32 v12, v13, v14, vcc_lo
	v_cmpx_eq_u32_e32 0, v2
	s_cbranch_execz .LBB31_8
; %bb.7:
	v_lshrrev_b32_e32 v13, 3, v0
	s_delay_alu instid0(VALU_DEP_1)
	v_and_b32_e32 v13, 0x7c, v13
	ds_store_b32 v13, v12
.LBB31_8:
	s_or_b32 exec_lo, exec_lo, s12
	s_delay_alu instid0(SALU_CYCLE_1)
	s_mov_b32 s12, exec_lo
	s_waitcnt lgkmcnt(0)
	s_waitcnt_vscnt null, 0x0
	s_barrier
	buffer_gl0_inv
	v_cmpx_gt_u32_e32 32, v0
	s_cbranch_execz .LBB31_10
; %bb.9:
	v_lshlrev_b32_e32 v2, 2, v2
	ds_load_b32 v2, v2
	s_waitcnt lgkmcnt(0)
	ds_bpermute_b32 v3, v3, v2
	s_waitcnt lgkmcnt(0)
	v_dual_add_f32 v3, v2, v3 :: v_dual_add_nc_u32 v12, 31, v17
	s_delay_alu instid0(VALU_DEP_1) | instskip(NEXT) | instid1(VALU_DEP_1)
	v_lshrrev_b32_e32 v12, 5, v12
	v_cmp_lt_u32_e32 vcc_lo, v4, v12
	s_delay_alu instid0(VALU_DEP_3) | instskip(SKIP_4) | instid1(VALU_DEP_1)
	v_cndmask_b32_e32 v2, v2, v3, vcc_lo
	v_cmp_lt_u32_e32 vcc_lo, v1, v12
	ds_bpermute_b32 v3, v5, v2
	s_waitcnt lgkmcnt(0)
	v_add_f32_e32 v3, v2, v3
	v_cndmask_b32_e32 v1, v2, v3, vcc_lo
	v_cmp_lt_u32_e32 vcc_lo, v7, v12
	ds_bpermute_b32 v2, v6, v1
	s_waitcnt lgkmcnt(0)
	v_add_f32_e32 v2, v1, v2
	s_delay_alu instid0(VALU_DEP_1) | instskip(SKIP_4) | instid1(VALU_DEP_1)
	v_cndmask_b32_e32 v1, v1, v2, vcc_lo
	v_cmp_lt_u32_e32 vcc_lo, v9, v12
	ds_bpermute_b32 v2, v8, v1
	s_waitcnt lgkmcnt(0)
	v_add_f32_e32 v2, v1, v2
	v_cndmask_b32_e32 v1, v1, v2, vcc_lo
	v_cmp_lt_u32_e32 vcc_lo, v11, v12
	ds_bpermute_b32 v2, v10, v1
	s_waitcnt lgkmcnt(0)
	v_add_f32_e32 v2, v1, v2
	s_delay_alu instid0(VALU_DEP_1)
	v_cndmask_b32_e32 v12, v1, v2, vcc_lo
.LBB31_10:
	s_or_b32 exec_lo, exec_lo, s12
	s_delay_alu instid0(SALU_CYCLE_1)
	s_mov_b32 s12, exec_lo
	v_cmpx_eq_u32_e32 0, v0
	s_cbranch_execz .LBB31_12
; %bb.11:
	v_cvt_f32_i32_e32 v1, s16
	s_load_b32 s0, s[0:1], 0x30
	s_delay_alu instid0(VALU_DEP_1) | instskip(SKIP_1) | instid1(VALU_DEP_2)
	v_div_scale_f32 v2, null, v1, v1, v12
	v_div_scale_f32 v5, vcc_lo, v12, v1, v12
	v_rcp_f32_e32 v3, v2
	s_waitcnt_depctr 0xfff
	v_fma_f32 v4, -v2, v3, 1.0
	s_delay_alu instid0(VALU_DEP_1) | instskip(NEXT) | instid1(VALU_DEP_1)
	v_fmac_f32_e32 v3, v4, v3
	v_mul_f32_e32 v4, v5, v3
	s_delay_alu instid0(VALU_DEP_1) | instskip(NEXT) | instid1(VALU_DEP_1)
	v_fma_f32 v6, -v2, v4, v5
	v_fmac_f32_e32 v4, v6, v3
	s_delay_alu instid0(VALU_DEP_1) | instskip(NEXT) | instid1(VALU_DEP_1)
	v_fma_f32 v2, -v2, v4, v5
	v_div_fmas_f32 v2, v2, v3, v4
	s_delay_alu instid0(VALU_DEP_1) | instskip(SKIP_1) | instid1(VALU_DEP_1)
	v_div_fixup_f32 v1, v2, v1, v12
	s_waitcnt lgkmcnt(0)
	v_add_f32_e32 v1, s0, v1
	s_delay_alu instid0(VALU_DEP_1) | instskip(SKIP_1) | instid1(VALU_DEP_2)
	v_mul_f32_e32 v2, 0x4b800000, v1
	v_cmp_gt_f32_e32 vcc_lo, 0x800000, v1
	v_cndmask_b32_e32 v1, v1, v2, vcc_lo
	s_delay_alu instid0(VALU_DEP_1) | instskip(SKIP_2) | instid1(VALU_DEP_1)
	v_rsq_f32_e32 v1, v1
	s_waitcnt_depctr 0xfff
	v_mul_f32_e32 v2, 0x45800000, v1
	v_dual_cndmask_b32 v1, v1, v2 :: v_dual_mov_b32 v2, 0
	ds_store_b32 v2, v1 offset:128
.LBB31_12:
	s_or_b32 exec_lo, exec_lo, s12
	s_waitcnt lgkmcnt(0)
	s_barrier
	buffer_gl0_inv
	s_and_saveexec_b32 s0, s2
	s_cbranch_execz .LBB31_95
; %bb.13:
	s_load_b32 s0, s[6:7], 0x0
	v_add_lshl_u32 v26, v0, s14, 3
	v_lshlrev_b32_e32 v27, 3, v17
	s_mov_b32 s2, 0
	v_mov_b32_e32 v19, 0
	ds_load_b32 v28, v19 offset:128
	v_mov_b32_e32 v18, v19
	s_delay_alu instid0(VALU_DEP_1) | instskip(SKIP_3) | instid1(VALU_DEP_2)
	v_lshlrev_b64 v[20:21], 5, v[17:18]
	s_waitcnt lgkmcnt(0)
	v_div_scale_f32 v1, null, s0, s0, 1.0
	v_div_scale_f32 v4, vcc_lo, 1.0, s0, 1.0
	v_rcp_f32_e32 v2, v1
	s_waitcnt_depctr 0xfff
	v_fma_f32 v3, -v1, v2, 1.0
	s_delay_alu instid0(VALU_DEP_1) | instskip(NEXT) | instid1(VALU_DEP_1)
	v_fmac_f32_e32 v2, v3, v2
	v_mul_f32_e32 v3, v4, v2
	s_delay_alu instid0(VALU_DEP_1) | instskip(NEXT) | instid1(VALU_DEP_1)
	v_fma_f32 v5, -v1, v3, v4
	v_fmac_f32_e32 v3, v5, v2
	s_delay_alu instid0(VALU_DEP_1) | instskip(SKIP_1) | instid1(VALU_DEP_2)
	v_fma_f32 v1, -v1, v3, v4
	v_lshlrev_b32_e32 v4, 5, v0
	v_div_fmas_f32 v1, v1, v2, v3
	s_delay_alu instid0(VALU_DEP_2) | instskip(NEXT) | instid1(VALU_DEP_1)
	v_add_co_u32 v2, s1, v4, s4
	v_add_co_ci_u32_e64 v3, null, 0, s5, s1
	s_delay_alu instid0(VALU_DEP_3) | instskip(NEXT) | instid1(VALU_DEP_3)
	v_div_fixup_f32 v29, v1, s0, 1.0
	v_add_co_u32 v22, vcc_lo, v2, 28
	s_delay_alu instid0(VALU_DEP_3)
	v_add_co_ci_u32_e32 v23, vcc_lo, 0, v3, vcc_lo
	s_mov_b32 s4, 0x43600000
	s_branch .LBB31_18
.LBB31_14:                              ;   in Loop: Header=BB31_18 Depth=1
	s_or_b32 exec_lo, exec_lo, s0
	s_delay_alu instid0(VALU_DEP_2) | instskip(NEXT) | instid1(VALU_DEP_2)
	v_lshrrev_b64 v[1:2], 20, v[1:2]
	v_cmp_gt_i32_e32 vcc_lo, 16, v4
	v_and_b32_e32 v3, 0x80, v3
	v_min_i32_e32 v5, 15, v4
	v_cmp_eq_u32_e64 s0, 0, v4
	v_dual_cndmask_b32 v2, 0, v2 :: v_dual_cndmask_b32 v1, 7, v1
	s_delay_alu instid0(VALU_DEP_3) | instskip(NEXT) | instid1(VALU_DEP_2)
	v_lshl_or_b32 v3, v5, 3, v3
	v_cmp_eq_u64_e32 vcc_lo, 0, v[1:2]
	s_delay_alu instid0(VALU_DEP_2)
	v_and_or_b32 v1, v1, 7, v3
	s_and_b32 s0, s0, vcc_lo
	s_delay_alu instid0(VALU_DEP_1) | instid1(SALU_CYCLE_1)
	v_cndmask_b32_e64 v1, v1, 0, s0
.LBB31_15:                              ;   in Loop: Header=BB31_18 Depth=1
	s_or_b32 exec_lo, exec_lo, s7
.LBB31_16:                              ;   in Loop: Header=BB31_18 Depth=1
	s_and_not1_saveexec_b32 s0, s6
	s_delay_alu instid0(SALU_CYCLE_1)
	s_or_b32 exec_lo, exec_lo, s0
.LBB31_17:                              ;   in Loop: Header=BB31_18 Depth=1
	s_and_not1_saveexec_b32 s0, s5
	s_delay_alu instid0(SALU_CYCLE_1) | instskip(SKIP_4) | instid1(VALU_DEP_4)
	s_or_b32 exec_lo, exec_lo, s0
	v_add_nc_u32_e32 v0, v0, v17
	v_add_co_u32 v22, s0, v22, v20
	v_add_nc_u32_e32 v26, v26, v27
	v_add_co_ci_u32_e64 v23, s0, v23, v21, s0
	v_cmp_le_i32_e32 vcc_lo, s3, v0
	global_store_b8 v[9:10], v1, off offset:7
	s_or_b32 s2, vcc_lo, s2
	s_delay_alu instid0(SALU_CYCLE_1)
	s_and_not1_b32 exec_lo, exec_lo, s2
	s_cbranch_execz .LBB31_95
.LBB31_18:                              ; =>This Inner Loop Header: Depth=1
	v_add_nc_u32_e32 v1, s14, v0
	s_mov_b32 s0, exec_lo
	s_delay_alu instid0(VALU_DEP_1) | instskip(NEXT) | instid1(VALU_DEP_1)
	v_ashrrev_i32_e32 v2, 31, v1
	v_lshlrev_b64 v[1:2], 5, v[1:2]
	s_delay_alu instid0(VALU_DEP_1) | instskip(NEXT) | instid1(VALU_DEP_2)
	v_add_co_u32 v1, vcc_lo, s8, v1
	v_add_co_ci_u32_e32 v2, vcc_lo, s9, v2, vcc_lo
	global_load_b128 v[9:12], v[1:2], off
	global_load_b128 v[13:16], v[22:23], off offset:-28
	global_load_b128 v[1:4], v[1:2], off offset:16
	global_load_b128 v[5:8], v[22:23], off offset:-12
	s_waitcnt vmcnt(3)
	v_mul_f32_e32 v9, v9, v28
	s_waitcnt vmcnt(2)
	s_delay_alu instid0(VALU_DEP_1) | instskip(NEXT) | instid1(VALU_DEP_1)
	v_mul_f32_e32 v9, v9, v13
	v_mul_f32_e32 v9, v29, v9
	s_delay_alu instid0(VALU_DEP_1) | instskip(NEXT) | instid1(VALU_DEP_1)
	v_minmax_f32 v24, v9, s4, 0xc3600000
	v_and_b32_e32 v18, 0x7f800000, v24
	v_lshrrev_b32_e32 v9, 24, v24
	s_delay_alu instid0(VALU_DEP_1) | instskip(NEXT) | instid1(VALU_DEP_3)
	v_or_b32_e32 v13, 0x7f, v9
	v_cmpx_ne_u64_e32 0x7f800000, v[18:19]
	s_xor_b32 s5, exec_lo, s0
	s_cbranch_execz .LBB31_28
; %bb.19:                               ;   in Loop: Header=BB31_18 Depth=1
	v_and_b32_e32 v18, 0x7fffffff, v24
	s_mov_b32 s0, exec_lo
	s_delay_alu instid0(VALU_DEP_1)
	v_cmpx_gt_u64_e32 0x43700001, v[18:19]
	s_xor_b32 s6, exec_lo, s0
	s_cbranch_execz .LBB31_27
; %bb.20:                               ;   in Loop: Header=BB31_18 Depth=1
	v_mov_b32_e32 v13, 0
	s_mov_b32 s7, exec_lo
	v_cmpx_ne_u32_e32 0, v24
	s_cbranch_execz .LBB31_26
; %bb.21:                               ;   in Loop: Header=BB31_18 Depth=1
	v_bfe_u32 v13, v24, 23, 8
	v_and_b32_e32 v24, 0x7fffff, v24
	s_delay_alu instid0(VALU_DEP_2) | instskip(SKIP_2) | instid1(VALU_DEP_3)
	v_sub_nc_u32_e64 v18, 0x78, v13 clamp
	v_cmp_eq_u32_e32 vcc_lo, 0, v13
	v_add_nc_u32_e32 v13, 0xffffff89, v13
	v_cndmask_b32_e64 v34, v18, 0x77, vcc_lo
	v_or_b32_e32 v18, 0x800000, v24
	s_delay_alu instid0(VALU_DEP_3) | instskip(NEXT) | instid1(VALU_DEP_2)
	v_cndmask_b32_e64 v13, v13, 0xffffff8a, vcc_lo
	v_dual_cndmask_b32 v18, v18, v24 :: v_dual_add_nc_u32 v25, 20, v34
	v_add_nc_u32_e32 v30, 19, v34
	s_delay_alu instid0(VALU_DEP_2) | instskip(NEXT) | instid1(VALU_DEP_3)
	v_lshlrev_b64 v[24:25], v25, -1
	v_lshrrev_b64 v[32:33], v34, v[18:19]
	s_delay_alu instid0(VALU_DEP_3) | instskip(SKIP_1) | instid1(VALU_DEP_4)
	v_lshlrev_b64 v[30:31], v30, 1
	v_mov_b32_e32 v25, v19
	v_not_b32_e32 v24, v24
	s_delay_alu instid0(VALU_DEP_1) | instskip(SKIP_1) | instid1(VALU_DEP_2)
	v_and_b32_e32 v24, v18, v24
	v_and_b32_e32 v18, 0x100000, v32
	v_cmp_eq_u64_e64 s0, v[24:25], v[30:31]
	s_delay_alu instid0(VALU_DEP_2) | instskip(SKIP_1) | instid1(VALU_DEP_1)
	v_cmp_eq_u64_e64 s1, 0, v[18:19]
	v_lshrrev_b32_e32 v18, 23, v32
	v_add3_u32 v30, v13, v34, v18
	s_delay_alu instid0(VALU_DEP_3) | instskip(SKIP_2) | instid1(VALU_DEP_2)
	s_and_b32 vcc_lo, s1, s0
	s_mov_b32 s0, exec_lo
	v_subrev_co_ci_u32_e32 v24, vcc_lo, 0, v32, vcc_lo
	v_add_nc_u32_e32 v31, -1, v30
	s_delay_alu instid0(VALU_DEP_2) | instskip(NEXT) | instid1(VALU_DEP_1)
	v_and_b32_e32 v13, 0xfffff, v24
	v_add_co_u32 v24, vcc_lo, v13, v32
	v_add_co_ci_u32_e32 v25, vcc_lo, 0, v33, vcc_lo
                                        ; implicit-def: $vgpr13
	s_delay_alu instid0(VALU_DEP_4)
	v_cmpx_ne_u32_e32 0, v31
	s_xor_b32 s0, exec_lo, s0
; %bb.22:                               ;   in Loop: Header=BB31_18 Depth=1
	s_delay_alu instid0(VALU_DEP_3) | instskip(SKIP_1) | instid1(VALU_DEP_2)
	v_and_b32_e32 v18, 0x1000000, v24
	v_bfe_u32 v13, v24, 24, 1
	v_cmp_eq_u64_e32 vcc_lo, 0, v[18:19]
	s_delay_alu instid0(VALU_DEP_2)
	v_lshrrev_b64 v[24:25], v13, v[24:25]
	v_cndmask_b32_e32 v13, v30, v31, vcc_lo
; %bb.23:                               ;   in Loop: Header=BB31_18 Depth=1
	s_and_not1_saveexec_b32 s0, s0
; %bb.24:                               ;   in Loop: Header=BB31_18 Depth=1
	s_delay_alu instid0(VALU_DEP_2)
	v_bfe_u32 v13, v24, 23, 1
; %bb.25:                               ;   in Loop: Header=BB31_18 Depth=1
	s_or_b32 exec_lo, exec_lo, s0
	s_delay_alu instid0(VALU_DEP_3) | instskip(NEXT) | instid1(VALU_DEP_2)
	v_lshrrev_b64 v[24:25], 20, v[24:25]
	v_cmp_gt_i32_e32 vcc_lo, 16, v13
	v_and_b32_e32 v9, 0x80, v9
	v_min_i32_e32 v18, 15, v13
	v_cmp_eq_u32_e64 s0, 0, v13
	v_dual_cndmask_b32 v24, 7, v24 :: v_dual_cndmask_b32 v25, 0, v25
	s_delay_alu instid0(VALU_DEP_3) | instskip(NEXT) | instid1(VALU_DEP_2)
	v_lshl_or_b32 v9, v18, 3, v9
	v_cmp_eq_u64_e32 vcc_lo, 0, v[24:25]
	s_delay_alu instid0(VALU_DEP_2)
	v_and_or_b32 v9, v24, 7, v9
	s_and_b32 s0, s0, vcc_lo
	s_delay_alu instid0(VALU_DEP_1) | instid1(SALU_CYCLE_1)
	v_cndmask_b32_e64 v13, v9, 0, s0
.LBB31_26:                              ;   in Loop: Header=BB31_18 Depth=1
	s_or_b32 exec_lo, exec_lo, s7
.LBB31_27:                              ;   in Loop: Header=BB31_18 Depth=1
	s_and_not1_saveexec_b32 s0, s6
	s_delay_alu instid0(SALU_CYCLE_1)
	s_or_b32 exec_lo, exec_lo, s0
.LBB31_28:                              ;   in Loop: Header=BB31_18 Depth=1
	s_and_not1_saveexec_b32 s0, s5
	s_delay_alu instid0(SALU_CYCLE_1) | instskip(SKIP_3) | instid1(VALU_DEP_2)
	s_or_b32 exec_lo, exec_lo, s0
	v_mul_f32_e32 v9, v10, v28
	v_ashrrev_i32_e32 v10, 31, v26
	s_mov_b32 s0, exec_lo
	v_mul_f32_e32 v9, v9, v14
	s_delay_alu instid0(VALU_DEP_1) | instskip(NEXT) | instid1(VALU_DEP_1)
	v_mul_f32_e32 v9, v29, v9
	v_minmax_f32 v25, v9, s4, 0xc3600000
	v_add_co_u32 v9, vcc_lo, s10, v26
	v_add_co_ci_u32_e32 v10, vcc_lo, s11, v10, vcc_lo
	s_delay_alu instid0(VALU_DEP_3)
	v_and_b32_e32 v18, 0x7f800000, v25
	v_lshrrev_b32_e32 v24, 24, v25
	global_store_b8 v[9:10], v13, off
	v_or_b32_e32 v14, 0x7f, v24
	v_cmpx_ne_u64_e32 0x7f800000, v[18:19]
	s_xor_b32 s5, exec_lo, s0
	s_cbranch_execz .LBB31_38
; %bb.29:                               ;   in Loop: Header=BB31_18 Depth=1
	v_and_b32_e32 v18, 0x7fffffff, v25
	s_mov_b32 s0, exec_lo
	s_delay_alu instid0(VALU_DEP_1)
	v_cmpx_gt_u64_e32 0x43700001, v[18:19]
	s_xor_b32 s6, exec_lo, s0
	s_cbranch_execz .LBB31_37
; %bb.30:                               ;   in Loop: Header=BB31_18 Depth=1
	v_mov_b32_e32 v14, 0
	s_mov_b32 s7, exec_lo
	v_cmpx_ne_u32_e32 0, v25
	s_cbranch_execz .LBB31_36
; %bb.31:                               ;   in Loop: Header=BB31_18 Depth=1
	v_bfe_u32 v30, v25, 23, 8
	v_and_b32_e32 v14, 0x7fffff, v25
	s_delay_alu instid0(VALU_DEP_2) | instskip(SKIP_2) | instid1(VALU_DEP_3)
	v_sub_nc_u32_e64 v13, 0x78, v30 clamp
	v_cmp_eq_u32_e32 vcc_lo, 0, v30
	v_add_nc_u32_e32 v30, 0xffffff89, v30
	v_cndmask_b32_e64 v25, v13, 0x77, vcc_lo
	v_or_b32_e32 v13, 0x800000, v14
	s_delay_alu instid0(VALU_DEP_1) | instskip(SKIP_1) | instid1(VALU_DEP_2)
	v_dual_cndmask_b32 v18, v13, v14 :: v_dual_add_nc_u32 v31, 20, v25
	v_add_nc_u32_e32 v33, 19, v25
	v_lshlrev_b64 v[13:14], v31, -1
	v_mov_b32_e32 v14, v19
	s_delay_alu instid0(VALU_DEP_4) | instskip(NEXT) | instid1(VALU_DEP_4)
	v_lshrrev_b64 v[31:32], v25, v[18:19]
	v_lshlrev_b64 v[33:34], v33, 1
	s_delay_alu instid0(VALU_DEP_4) | instskip(NEXT) | instid1(VALU_DEP_1)
	v_not_b32_e32 v13, v13
	v_and_b32_e32 v13, v18, v13
	s_delay_alu instid0(VALU_DEP_4) | instskip(NEXT) | instid1(VALU_DEP_2)
	v_and_b32_e32 v18, 0x100000, v31
	v_cmp_eq_u64_e64 s0, v[13:14], v[33:34]
	s_delay_alu instid0(VALU_DEP_2) | instskip(SKIP_2) | instid1(VALU_DEP_3)
	v_cmp_eq_u64_e64 s1, 0, v[18:19]
	v_cndmask_b32_e64 v13, v30, 0xffffff8a, vcc_lo
	v_lshrrev_b32_e32 v14, 23, v31
	s_and_b32 vcc_lo, s1, s0
	s_delay_alu instid0(VALU_DEP_1) | instskip(SKIP_2) | instid1(VALU_DEP_2)
	v_add3_u32 v25, v13, v25, v14
	v_subrev_co_ci_u32_e32 v18, vcc_lo, 0, v31, vcc_lo
	s_mov_b32 s0, exec_lo
	v_add_nc_u32_e32 v30, -1, v25
	s_delay_alu instid0(VALU_DEP_2) | instskip(NEXT) | instid1(VALU_DEP_1)
	v_and_b32_e32 v13, 0xfffff, v18
                                        ; implicit-def: $vgpr18
	v_add_co_u32 v13, vcc_lo, v13, v31
	v_add_co_ci_u32_e32 v14, vcc_lo, 0, v32, vcc_lo
	s_delay_alu instid0(VALU_DEP_4)
	v_cmpx_ne_u32_e32 0, v30
	s_xor_b32 s0, exec_lo, s0
; %bb.32:                               ;   in Loop: Header=BB31_18 Depth=1
	s_delay_alu instid0(VALU_DEP_3) | instskip(SKIP_1) | instid1(VALU_DEP_2)
	v_and_b32_e32 v18, 0x1000000, v13
	v_bfe_u32 v31, v13, 24, 1
	v_cmp_eq_u64_e32 vcc_lo, 0, v[18:19]
	s_delay_alu instid0(VALU_DEP_2)
	v_lshrrev_b64 v[13:14], v31, v[13:14]
	v_cndmask_b32_e32 v18, v25, v30, vcc_lo
; %bb.33:                               ;   in Loop: Header=BB31_18 Depth=1
	s_and_not1_saveexec_b32 s0, s0
; %bb.34:                               ;   in Loop: Header=BB31_18 Depth=1
	s_delay_alu instid0(VALU_DEP_2)
	v_bfe_u32 v18, v13, 23, 1
; %bb.35:                               ;   in Loop: Header=BB31_18 Depth=1
	s_or_b32 exec_lo, exec_lo, s0
	s_delay_alu instid0(VALU_DEP_3) | instskip(NEXT) | instid1(VALU_DEP_2)
	v_lshrrev_b64 v[13:14], 20, v[13:14]
	v_cmp_gt_i32_e32 vcc_lo, 16, v18
	v_and_b32_e32 v24, 0x80, v24
	v_min_i32_e32 v25, 15, v18
	v_cmp_eq_u32_e64 s0, 0, v18
	v_dual_cndmask_b32 v13, 7, v13 :: v_dual_cndmask_b32 v14, 0, v14
	s_delay_alu instid0(VALU_DEP_3) | instskip(NEXT) | instid1(VALU_DEP_2)
	v_lshl_or_b32 v24, v25, 3, v24
	v_cmp_eq_u64_e32 vcc_lo, 0, v[13:14]
	s_delay_alu instid0(VALU_DEP_2)
	v_and_or_b32 v13, v13, 7, v24
	s_and_b32 s0, s0, vcc_lo
	s_delay_alu instid0(VALU_DEP_1) | instid1(SALU_CYCLE_1)
	v_cndmask_b32_e64 v14, v13, 0, s0
.LBB31_36:                              ;   in Loop: Header=BB31_18 Depth=1
	s_or_b32 exec_lo, exec_lo, s7
.LBB31_37:                              ;   in Loop: Header=BB31_18 Depth=1
	s_and_not1_saveexec_b32 s0, s6
	s_delay_alu instid0(SALU_CYCLE_1)
	s_or_b32 exec_lo, exec_lo, s0
.LBB31_38:                              ;   in Loop: Header=BB31_18 Depth=1
	s_and_not1_saveexec_b32 s0, s5
	s_delay_alu instid0(SALU_CYCLE_1) | instskip(SKIP_4) | instid1(VALU_DEP_1)
	s_or_b32 exec_lo, exec_lo, s0
	v_mul_f32_e32 v11, v11, v28
	global_store_b8 v[9:10], v14, off offset:1
	s_mov_b32 s0, exec_lo
	v_mul_f32_e32 v11, v11, v15
	v_mul_f32_e32 v11, v29, v11
	s_delay_alu instid0(VALU_DEP_1) | instskip(NEXT) | instid1(VALU_DEP_1)
	v_minmax_f32 v13, v11, s4, 0xc3600000
	v_and_b32_e32 v18, 0x7f800000, v13
	v_lshrrev_b32_e32 v11, 24, v13
	s_delay_alu instid0(VALU_DEP_1) | instskip(NEXT) | instid1(VALU_DEP_3)
	v_or_b32_e32 v15, 0x7f, v11
	v_cmpx_ne_u64_e32 0x7f800000, v[18:19]
	s_xor_b32 s5, exec_lo, s0
	s_cbranch_execz .LBB31_48
; %bb.39:                               ;   in Loop: Header=BB31_18 Depth=1
	v_and_b32_e32 v18, 0x7fffffff, v13
	s_mov_b32 s0, exec_lo
	s_delay_alu instid0(VALU_DEP_1)
	v_cmpx_gt_u64_e32 0x43700001, v[18:19]
	s_xor_b32 s6, exec_lo, s0
	s_cbranch_execz .LBB31_47
; %bb.40:                               ;   in Loop: Header=BB31_18 Depth=1
	v_mov_b32_e32 v15, 0
	s_mov_b32 s7, exec_lo
	v_cmpx_ne_u32_e32 0, v13
	s_cbranch_execz .LBB31_46
; %bb.41:                               ;   in Loop: Header=BB31_18 Depth=1
	v_bfe_u32 v32, v13, 23, 8
	v_and_b32_e32 v13, 0x7fffff, v13
	v_mov_b32_e32 v25, v19
	s_delay_alu instid0(VALU_DEP_3) | instskip(SKIP_1) | instid1(VALU_DEP_2)
	v_sub_nc_u32_e64 v14, 0x78, v32 clamp
	v_cmp_eq_u32_e32 vcc_lo, 0, v32
	v_cndmask_b32_e64 v33, v14, 0x77, vcc_lo
	v_or_b32_e32 v14, 0x800000, v13
	s_delay_alu instid0(VALU_DEP_2) | instskip(NEXT) | instid1(VALU_DEP_2)
	v_add_nc_u32_e32 v15, 20, v33
	v_cndmask_b32_e32 v18, v14, v13, vcc_lo
	v_add_nc_u32_e32 v24, 19, v33
	s_delay_alu instid0(VALU_DEP_3) | instskip(NEXT) | instid1(VALU_DEP_3)
	v_lshlrev_b64 v[13:14], v15, -1
	v_lshrrev_b64 v[14:15], v33, v[18:19]
	s_delay_alu instid0(VALU_DEP_3) | instskip(NEXT) | instid1(VALU_DEP_3)
	v_lshlrev_b64 v[30:31], v24, 1
	v_not_b32_e32 v13, v13
	s_delay_alu instid0(VALU_DEP_1) | instskip(NEXT) | instid1(VALU_DEP_4)
	v_and_b32_e32 v24, v18, v13
	v_and_b32_e32 v18, 0x100000, v14
	v_add_nc_u32_e32 v13, 0xffffff89, v32
	s_delay_alu instid0(VALU_DEP_3) | instskip(NEXT) | instid1(VALU_DEP_3)
	v_cmp_eq_u64_e64 s0, v[24:25], v[30:31]
	v_cmp_eq_u64_e64 s1, 0, v[18:19]
	s_delay_alu instid0(VALU_DEP_3) | instskip(SKIP_1) | instid1(VALU_DEP_3)
	v_cndmask_b32_e64 v13, v13, 0xffffff8a, vcc_lo
	v_lshrrev_b32_e32 v18, 23, v14
	s_and_b32 vcc_lo, s1, s0
	s_delay_alu instid0(VALU_DEP_1) | instskip(SKIP_2) | instid1(VALU_DEP_1)
	v_add3_u32 v24, v13, v33, v18
	v_subrev_co_ci_u32_e32 v25, vcc_lo, 0, v14, vcc_lo
	s_mov_b32 s0, exec_lo
	v_and_b32_e32 v13, 0xfffff, v25
	s_delay_alu instid0(VALU_DEP_3) | instskip(NEXT) | instid1(VALU_DEP_2)
	v_add_nc_u32_e32 v25, -1, v24
	v_add_co_u32 v13, vcc_lo, v13, v14
	v_add_co_ci_u32_e32 v14, vcc_lo, 0, v15, vcc_lo
                                        ; implicit-def: $vgpr15
	s_delay_alu instid0(VALU_DEP_3)
	v_cmpx_ne_u32_e32 0, v25
	s_xor_b32 s0, exec_lo, s0
; %bb.42:                               ;   in Loop: Header=BB31_18 Depth=1
	s_delay_alu instid0(VALU_DEP_3) | instskip(SKIP_1) | instid1(VALU_DEP_2)
	v_and_b32_e32 v18, 0x1000000, v13
	v_bfe_u32 v15, v13, 24, 1
	v_cmp_eq_u64_e32 vcc_lo, 0, v[18:19]
	s_delay_alu instid0(VALU_DEP_2)
	v_lshrrev_b64 v[13:14], v15, v[13:14]
	v_cndmask_b32_e32 v15, v24, v25, vcc_lo
; %bb.43:                               ;   in Loop: Header=BB31_18 Depth=1
	s_and_not1_saveexec_b32 s0, s0
; %bb.44:                               ;   in Loop: Header=BB31_18 Depth=1
	s_delay_alu instid0(VALU_DEP_2)
	v_bfe_u32 v15, v13, 23, 1
; %bb.45:                               ;   in Loop: Header=BB31_18 Depth=1
	s_or_b32 exec_lo, exec_lo, s0
	s_delay_alu instid0(VALU_DEP_3) | instskip(NEXT) | instid1(VALU_DEP_2)
	v_lshrrev_b64 v[13:14], 20, v[13:14]
	v_cmp_gt_i32_e32 vcc_lo, 16, v15
	v_and_b32_e32 v11, 0x80, v11
	v_min_i32_e32 v18, 15, v15
	v_cmp_eq_u32_e64 s0, 0, v15
	v_dual_cndmask_b32 v14, 0, v14 :: v_dual_cndmask_b32 v13, 7, v13
	s_delay_alu instid0(VALU_DEP_3) | instskip(NEXT) | instid1(VALU_DEP_2)
	v_lshl_or_b32 v11, v18, 3, v11
	v_cmp_eq_u64_e32 vcc_lo, 0, v[13:14]
	s_delay_alu instid0(VALU_DEP_2)
	v_and_or_b32 v11, v13, 7, v11
	s_and_b32 s0, s0, vcc_lo
	s_delay_alu instid0(VALU_DEP_1) | instid1(SALU_CYCLE_1)
	v_cndmask_b32_e64 v15, v11, 0, s0
.LBB31_46:                              ;   in Loop: Header=BB31_18 Depth=1
	s_or_b32 exec_lo, exec_lo, s7
.LBB31_47:                              ;   in Loop: Header=BB31_18 Depth=1
	s_and_not1_saveexec_b32 s0, s6
	s_delay_alu instid0(SALU_CYCLE_1)
	s_or_b32 exec_lo, exec_lo, s0
.LBB31_48:                              ;   in Loop: Header=BB31_18 Depth=1
	s_and_not1_saveexec_b32 s0, s5
	s_delay_alu instid0(SALU_CYCLE_1) | instskip(SKIP_4) | instid1(VALU_DEP_1)
	s_or_b32 exec_lo, exec_lo, s0
	v_mul_f32_e32 v11, v12, v28
	global_store_b8 v[9:10], v15, off offset:2
	s_mov_b32 s0, exec_lo
	v_mul_f32_e32 v11, v11, v16
	v_mul_f32_e32 v11, v29, v11
	s_delay_alu instid0(VALU_DEP_1) | instskip(NEXT) | instid1(VALU_DEP_1)
	v_minmax_f32 v12, v11, s4, 0xc3600000
	v_and_b32_e32 v18, 0x7f800000, v12
	v_lshrrev_b32_e32 v13, 24, v12
	s_delay_alu instid0(VALU_DEP_1) | instskip(NEXT) | instid1(VALU_DEP_3)
	v_or_b32_e32 v11, 0x7f, v13
	v_cmpx_ne_u64_e32 0x7f800000, v[18:19]
	s_xor_b32 s5, exec_lo, s0
	s_cbranch_execz .LBB31_58
; %bb.49:                               ;   in Loop: Header=BB31_18 Depth=1
	v_and_b32_e32 v18, 0x7fffffff, v12
	s_mov_b32 s0, exec_lo
	s_delay_alu instid0(VALU_DEP_1)
	v_cmpx_gt_u64_e32 0x43700001, v[18:19]
	s_xor_b32 s6, exec_lo, s0
	s_cbranch_execz .LBB31_57
; %bb.50:                               ;   in Loop: Header=BB31_18 Depth=1
	v_mov_b32_e32 v11, 0
	s_mov_b32 s7, exec_lo
	v_cmpx_ne_u32_e32 0, v12
	s_cbranch_execz .LBB31_56
; %bb.51:                               ;   in Loop: Header=BB31_18 Depth=1
	v_bfe_u32 v16, v12, 23, 8
	v_and_b32_e32 v12, 0x7fffff, v12
	s_delay_alu instid0(VALU_DEP_2) | instskip(SKIP_2) | instid1(VALU_DEP_3)
	v_sub_nc_u32_e64 v11, 0x78, v16 clamp
	v_cmp_eq_u32_e32 vcc_lo, 0, v16
	v_add_nc_u32_e32 v16, 0xffffff89, v16
	v_cndmask_b32_e64 v30, v11, 0x77, vcc_lo
	v_or_b32_e32 v11, 0x800000, v12
	s_delay_alu instid0(VALU_DEP_2) | instskip(NEXT) | instid1(VALU_DEP_2)
	v_add_nc_u32_e32 v14, 20, v30
	v_cndmask_b32_e32 v18, v11, v12, vcc_lo
	s_delay_alu instid0(VALU_DEP_2) | instskip(SKIP_1) | instid1(VALU_DEP_3)
	v_lshlrev_b64 v[11:12], v14, -1
	v_add_nc_u32_e32 v14, 19, v30
	v_lshrrev_b64 v[24:25], v30, v[18:19]
	s_delay_alu instid0(VALU_DEP_2) | instskip(NEXT) | instid1(VALU_DEP_4)
	v_lshlrev_b64 v[14:15], v14, 1
	v_not_b32_e32 v11, v11
	s_delay_alu instid0(VALU_DEP_1) | instskip(NEXT) | instid1(VALU_DEP_4)
	v_dual_mov_b32 v12, v19 :: v_dual_and_b32 v11, v18, v11
	v_and_b32_e32 v18, 0x100000, v24
	s_delay_alu instid0(VALU_DEP_2) | instskip(NEXT) | instid1(VALU_DEP_2)
	v_cmp_eq_u64_e64 s0, v[11:12], v[14:15]
	v_cmp_eq_u64_e64 s1, 0, v[18:19]
	v_cndmask_b32_e64 v11, v16, 0xffffff8a, vcc_lo
	v_lshrrev_b32_e32 v12, 23, v24
	s_delay_alu instid0(VALU_DEP_3) | instskip(NEXT) | instid1(VALU_DEP_1)
	s_and_b32 vcc_lo, s1, s0
	v_add3_u32 v15, v11, v30, v12
	v_subrev_co_ci_u32_e32 v14, vcc_lo, 0, v24, vcc_lo
	s_mov_b32 s0, exec_lo
	s_delay_alu instid0(VALU_DEP_2) | instskip(NEXT) | instid1(VALU_DEP_2)
	v_add_nc_u32_e32 v16, -1, v15
	v_and_b32_e32 v11, 0xfffff, v14
                                        ; implicit-def: $vgpr14
	s_delay_alu instid0(VALU_DEP_1) | instskip(SKIP_1) | instid1(VALU_DEP_4)
	v_add_co_u32 v11, vcc_lo, v11, v24
	v_add_co_ci_u32_e32 v12, vcc_lo, 0, v25, vcc_lo
	v_cmpx_ne_u32_e32 0, v16
	s_xor_b32 s0, exec_lo, s0
; %bb.52:                               ;   in Loop: Header=BB31_18 Depth=1
	s_delay_alu instid0(VALU_DEP_3) | instskip(SKIP_1) | instid1(VALU_DEP_2)
	v_and_b32_e32 v18, 0x1000000, v11
	v_bfe_u32 v14, v11, 24, 1
	v_cmp_eq_u64_e32 vcc_lo, 0, v[18:19]
	s_delay_alu instid0(VALU_DEP_2)
	v_lshrrev_b64 v[11:12], v14, v[11:12]
	v_cndmask_b32_e32 v14, v15, v16, vcc_lo
; %bb.53:                               ;   in Loop: Header=BB31_18 Depth=1
	s_and_not1_saveexec_b32 s0, s0
; %bb.54:                               ;   in Loop: Header=BB31_18 Depth=1
	s_delay_alu instid0(VALU_DEP_2)
	v_bfe_u32 v14, v11, 23, 1
; %bb.55:                               ;   in Loop: Header=BB31_18 Depth=1
	s_or_b32 exec_lo, exec_lo, s0
	s_delay_alu instid0(VALU_DEP_3) | instskip(NEXT) | instid1(VALU_DEP_2)
	v_lshrrev_b64 v[11:12], 20, v[11:12]
	v_cmp_gt_i32_e32 vcc_lo, 16, v14
	v_and_b32_e32 v13, 0x80, v13
	v_min_i32_e32 v15, 15, v14
	v_cmp_eq_u32_e64 s0, 0, v14
	v_dual_cndmask_b32 v12, 0, v12 :: v_dual_cndmask_b32 v11, 7, v11
	s_delay_alu instid0(VALU_DEP_3) | instskip(NEXT) | instid1(VALU_DEP_2)
	v_lshl_or_b32 v13, v15, 3, v13
	v_cmp_eq_u64_e32 vcc_lo, 0, v[11:12]
	s_delay_alu instid0(VALU_DEP_2)
	v_and_or_b32 v11, v11, 7, v13
	s_and_b32 s0, s0, vcc_lo
	s_delay_alu instid0(VALU_DEP_1) | instid1(SALU_CYCLE_1)
	v_cndmask_b32_e64 v11, v11, 0, s0
.LBB31_56:                              ;   in Loop: Header=BB31_18 Depth=1
	s_or_b32 exec_lo, exec_lo, s7
.LBB31_57:                              ;   in Loop: Header=BB31_18 Depth=1
	s_and_not1_saveexec_b32 s0, s6
	s_delay_alu instid0(SALU_CYCLE_1)
	s_or_b32 exec_lo, exec_lo, s0
.LBB31_58:                              ;   in Loop: Header=BB31_18 Depth=1
	s_and_not1_saveexec_b32 s0, s5
	s_delay_alu instid0(SALU_CYCLE_1)
	s_or_b32 exec_lo, exec_lo, s0
	s_waitcnt vmcnt(1)
	v_mul_f32_e32 v1, v1, v28
	global_store_b8 v[9:10], v11, off offset:3
	s_mov_b32 s0, exec_lo
	s_waitcnt vmcnt(0)
	v_mul_f32_e32 v1, v1, v5
	s_delay_alu instid0(VALU_DEP_1) | instskip(NEXT) | instid1(VALU_DEP_1)
	v_mul_f32_e32 v1, v29, v1
	v_minmax_f32 v5, v1, s4, 0xc3600000
	s_delay_alu instid0(VALU_DEP_1) | instskip(SKIP_1) | instid1(VALU_DEP_1)
	v_and_b32_e32 v18, 0x7f800000, v5
	v_lshrrev_b32_e32 v1, 24, v5
	v_or_b32_e32 v12, 0x7f, v1
	s_delay_alu instid0(VALU_DEP_3)
	v_cmpx_ne_u64_e32 0x7f800000, v[18:19]
	s_xor_b32 s5, exec_lo, s0
	s_cbranch_execz .LBB31_68
; %bb.59:                               ;   in Loop: Header=BB31_18 Depth=1
	v_and_b32_e32 v18, 0x7fffffff, v5
	s_mov_b32 s0, exec_lo
	s_delay_alu instid0(VALU_DEP_1)
	v_cmpx_gt_u64_e32 0x43700001, v[18:19]
	s_xor_b32 s6, exec_lo, s0
	s_cbranch_execz .LBB31_67
; %bb.60:                               ;   in Loop: Header=BB31_18 Depth=1
	v_mov_b32_e32 v12, 0
	s_mov_b32 s7, exec_lo
	v_cmpx_ne_u32_e32 0, v5
	s_cbranch_execz .LBB31_66
; %bb.61:                               ;   in Loop: Header=BB31_18 Depth=1
	v_bfe_u32 v24, v5, 23, 8
	v_and_b32_e32 v5, 0x7fffff, v5
	s_delay_alu instid0(VALU_DEP_2) | instskip(SKIP_1) | instid1(VALU_DEP_2)
	v_sub_nc_u32_e64 v11, 0x78, v24 clamp
	v_cmp_eq_u32_e32 vcc_lo, 0, v24
	v_cndmask_b32_e64 v25, v11, 0x77, vcc_lo
	s_delay_alu instid0(VALU_DEP_4) | instskip(NEXT) | instid1(VALU_DEP_2)
	v_or_b32_e32 v11, 0x800000, v5
	v_add_nc_u32_e32 v12, 20, v25
	s_delay_alu instid0(VALU_DEP_2) | instskip(SKIP_1) | instid1(VALU_DEP_3)
	v_cndmask_b32_e32 v18, v11, v5, vcc_lo
	v_add_nc_u32_e32 v5, 19, v25
	v_lshlrev_b64 v[11:12], v12, -1
	v_mov_b32_e32 v12, v19
	s_delay_alu instid0(VALU_DEP_3) | instskip(SKIP_3) | instid1(VALU_DEP_3)
	v_lshlrev_b64 v[13:14], v5, 1
	v_add_nc_u32_e32 v5, 0xffffff89, v24
	v_lshrrev_b64 v[15:16], v25, v[18:19]
	v_not_b32_e32 v11, v11
	v_cndmask_b32_e64 v5, v5, 0xffffff8a, vcc_lo
	s_delay_alu instid0(VALU_DEP_2) | instskip(NEXT) | instid1(VALU_DEP_4)
	v_and_b32_e32 v11, v18, v11
	v_and_b32_e32 v18, 0x100000, v15
	s_delay_alu instid0(VALU_DEP_2) | instskip(NEXT) | instid1(VALU_DEP_2)
	v_cmp_eq_u64_e64 s0, v[11:12], v[13:14]
	v_cmp_eq_u64_e64 s1, 0, v[18:19]
	v_lshrrev_b32_e32 v11, 23, v15
	s_delay_alu instid0(VALU_DEP_1) | instskip(NEXT) | instid1(VALU_DEP_3)
	v_add3_u32 v13, v5, v25, v11
	s_and_b32 vcc_lo, s1, s0
	s_mov_b32 s0, exec_lo
	v_subrev_co_ci_u32_e32 v12, vcc_lo, 0, v15, vcc_lo
	s_delay_alu instid0(VALU_DEP_2) | instskip(NEXT) | instid1(VALU_DEP_2)
	v_add_nc_u32_e32 v14, -1, v13
	v_and_b32_e32 v5, 0xfffff, v12
	s_delay_alu instid0(VALU_DEP_1) | instskip(SKIP_1) | instid1(VALU_DEP_4)
	v_add_co_u32 v11, vcc_lo, v5, v15
	v_add_co_ci_u32_e32 v12, vcc_lo, 0, v16, vcc_lo
                                        ; implicit-def: $vgpr5
	v_cmpx_ne_u32_e32 0, v14
	s_xor_b32 s0, exec_lo, s0
; %bb.62:                               ;   in Loop: Header=BB31_18 Depth=1
	s_delay_alu instid0(VALU_DEP_3) | instskip(SKIP_1) | instid1(VALU_DEP_2)
	v_and_b32_e32 v18, 0x1000000, v11
	v_bfe_u32 v5, v11, 24, 1
	v_cmp_eq_u64_e32 vcc_lo, 0, v[18:19]
	s_delay_alu instid0(VALU_DEP_2)
	v_lshrrev_b64 v[11:12], v5, v[11:12]
	v_cndmask_b32_e32 v5, v13, v14, vcc_lo
; %bb.63:                               ;   in Loop: Header=BB31_18 Depth=1
	s_and_not1_saveexec_b32 s0, s0
; %bb.64:                               ;   in Loop: Header=BB31_18 Depth=1
	s_delay_alu instid0(VALU_DEP_2)
	v_bfe_u32 v5, v11, 23, 1
; %bb.65:                               ;   in Loop: Header=BB31_18 Depth=1
	s_or_b32 exec_lo, exec_lo, s0
	s_delay_alu instid0(VALU_DEP_3) | instskip(NEXT) | instid1(VALU_DEP_2)
	v_lshrrev_b64 v[11:12], 20, v[11:12]
	v_cmp_gt_i32_e32 vcc_lo, 16, v5
	v_and_b32_e32 v1, 0x80, v1
	v_min_i32_e32 v13, 15, v5
	v_cmp_eq_u32_e64 s0, 0, v5
	v_dual_cndmask_b32 v12, 0, v12 :: v_dual_cndmask_b32 v11, 7, v11
	s_delay_alu instid0(VALU_DEP_3) | instskip(NEXT) | instid1(VALU_DEP_2)
	v_lshl_or_b32 v1, v13, 3, v1
	v_cmp_eq_u64_e32 vcc_lo, 0, v[11:12]
	s_delay_alu instid0(VALU_DEP_2)
	v_and_or_b32 v1, v11, 7, v1
	s_and_b32 s0, s0, vcc_lo
	s_delay_alu instid0(VALU_DEP_1) | instid1(SALU_CYCLE_1)
	v_cndmask_b32_e64 v12, v1, 0, s0
.LBB31_66:                              ;   in Loop: Header=BB31_18 Depth=1
	s_or_b32 exec_lo, exec_lo, s7
.LBB31_67:                              ;   in Loop: Header=BB31_18 Depth=1
	s_and_not1_saveexec_b32 s0, s6
	s_delay_alu instid0(SALU_CYCLE_1)
	s_or_b32 exec_lo, exec_lo, s0
.LBB31_68:                              ;   in Loop: Header=BB31_18 Depth=1
	s_and_not1_saveexec_b32 s0, s5
	s_delay_alu instid0(SALU_CYCLE_1) | instskip(SKIP_4) | instid1(VALU_DEP_1)
	s_or_b32 exec_lo, exec_lo, s0
	v_mul_f32_e32 v1, v2, v28
	global_store_b8 v[9:10], v12, off offset:4
	s_mov_b32 s0, exec_lo
	v_mul_f32_e32 v1, v1, v6
	v_mul_f32_e32 v1, v29, v1
	s_delay_alu instid0(VALU_DEP_1) | instskip(NEXT) | instid1(VALU_DEP_1)
	v_minmax_f32 v2, v1, s4, 0xc3600000
	v_and_b32_e32 v18, 0x7f800000, v2
	v_lshrrev_b32_e32 v5, 24, v2
	s_delay_alu instid0(VALU_DEP_1) | instskip(NEXT) | instid1(VALU_DEP_3)
	v_or_b32_e32 v1, 0x7f, v5
	v_cmpx_ne_u64_e32 0x7f800000, v[18:19]
	s_xor_b32 s5, exec_lo, s0
	s_cbranch_execz .LBB31_78
; %bb.69:                               ;   in Loop: Header=BB31_18 Depth=1
	v_and_b32_e32 v18, 0x7fffffff, v2
	s_mov_b32 s0, exec_lo
	s_delay_alu instid0(VALU_DEP_1)
	v_cmpx_gt_u64_e32 0x43700001, v[18:19]
	s_xor_b32 s6, exec_lo, s0
	s_cbranch_execz .LBB31_77
; %bb.70:                               ;   in Loop: Header=BB31_18 Depth=1
	v_mov_b32_e32 v1, 0
	s_mov_b32 s7, exec_lo
	v_cmpx_ne_u32_e32 0, v2
	s_cbranch_execz .LBB31_76
; %bb.71:                               ;   in Loop: Header=BB31_18 Depth=1
	v_bfe_u32 v6, v2, 23, 8
	v_and_b32_e32 v2, 0x7fffff, v2
	s_delay_alu instid0(VALU_DEP_2) | instskip(SKIP_2) | instid1(VALU_DEP_3)
	v_sub_nc_u32_e64 v1, 0x78, v6 clamp
	v_cmp_eq_u32_e32 vcc_lo, 0, v6
	v_add_nc_u32_e32 v6, 0xffffff89, v6
	v_cndmask_b32_e64 v15, v1, 0x77, vcc_lo
	v_or_b32_e32 v1, 0x800000, v2
	s_delay_alu instid0(VALU_DEP_1) | instskip(NEXT) | instid1(VALU_DEP_1)
	v_dual_cndmask_b32 v18, v1, v2 :: v_dual_add_nc_u32 v11, 20, v15
	v_lshlrev_b64 v[1:2], v11, -1
	v_dual_mov_b32 v2, v19 :: v_dual_add_nc_u32 v11, 19, v15
	s_delay_alu instid0(VALU_DEP_3) | instskip(NEXT) | instid1(VALU_DEP_2)
	v_lshrrev_b64 v[13:14], v15, v[18:19]
	v_lshlrev_b64 v[11:12], v11, 1
	s_delay_alu instid0(VALU_DEP_4) | instskip(NEXT) | instid1(VALU_DEP_1)
	v_not_b32_e32 v1, v1
	v_and_b32_e32 v1, v18, v1
	s_delay_alu instid0(VALU_DEP_4) | instskip(NEXT) | instid1(VALU_DEP_2)
	v_and_b32_e32 v18, 0x100000, v13
	v_cmp_eq_u64_e64 s0, v[1:2], v[11:12]
	s_delay_alu instid0(VALU_DEP_2) | instskip(SKIP_2) | instid1(VALU_DEP_3)
	v_cmp_eq_u64_e64 s1, 0, v[18:19]
	v_cndmask_b32_e64 v1, v6, 0xffffff8a, vcc_lo
	v_lshrrev_b32_e32 v2, 23, v13
	s_and_b32 vcc_lo, s1, s0
	s_delay_alu instid0(VALU_DEP_1) | instskip(SKIP_2) | instid1(VALU_DEP_2)
	v_add3_u32 v11, v1, v15, v2
	v_subrev_co_ci_u32_e32 v6, vcc_lo, 0, v13, vcc_lo
	s_mov_b32 s0, exec_lo
	v_add_nc_u32_e32 v12, -1, v11
	s_delay_alu instid0(VALU_DEP_2) | instskip(NEXT) | instid1(VALU_DEP_1)
	v_and_b32_e32 v1, 0xfffff, v6
                                        ; implicit-def: $vgpr6
	v_add_co_u32 v1, vcc_lo, v1, v13
	v_add_co_ci_u32_e32 v2, vcc_lo, 0, v14, vcc_lo
	s_delay_alu instid0(VALU_DEP_4)
	v_cmpx_ne_u32_e32 0, v12
	s_xor_b32 s0, exec_lo, s0
; %bb.72:                               ;   in Loop: Header=BB31_18 Depth=1
	s_delay_alu instid0(VALU_DEP_3) | instskip(SKIP_1) | instid1(VALU_DEP_2)
	v_and_b32_e32 v18, 0x1000000, v1
	v_bfe_u32 v6, v1, 24, 1
	v_cmp_eq_u64_e32 vcc_lo, 0, v[18:19]
	s_delay_alu instid0(VALU_DEP_2)
	v_lshrrev_b64 v[1:2], v6, v[1:2]
	v_cndmask_b32_e32 v6, v11, v12, vcc_lo
; %bb.73:                               ;   in Loop: Header=BB31_18 Depth=1
	s_and_not1_saveexec_b32 s0, s0
; %bb.74:                               ;   in Loop: Header=BB31_18 Depth=1
	s_delay_alu instid0(VALU_DEP_2)
	v_bfe_u32 v6, v1, 23, 1
; %bb.75:                               ;   in Loop: Header=BB31_18 Depth=1
	s_or_b32 exec_lo, exec_lo, s0
	s_delay_alu instid0(VALU_DEP_3) | instskip(NEXT) | instid1(VALU_DEP_2)
	v_lshrrev_b64 v[1:2], 20, v[1:2]
	v_cmp_gt_i32_e32 vcc_lo, 16, v6
	v_and_b32_e32 v5, 0x80, v5
	v_min_i32_e32 v11, 15, v6
	v_cmp_eq_u32_e64 s0, 0, v6
	v_dual_cndmask_b32 v2, 0, v2 :: v_dual_cndmask_b32 v1, 7, v1
	s_delay_alu instid0(VALU_DEP_3) | instskip(NEXT) | instid1(VALU_DEP_2)
	v_lshl_or_b32 v5, v11, 3, v5
	v_cmp_eq_u64_e32 vcc_lo, 0, v[1:2]
	s_delay_alu instid0(VALU_DEP_2)
	v_and_or_b32 v1, v1, 7, v5
	s_and_b32 s0, s0, vcc_lo
	s_delay_alu instid0(VALU_DEP_1) | instid1(SALU_CYCLE_1)
	v_cndmask_b32_e64 v1, v1, 0, s0
.LBB31_76:                              ;   in Loop: Header=BB31_18 Depth=1
	s_or_b32 exec_lo, exec_lo, s7
.LBB31_77:                              ;   in Loop: Header=BB31_18 Depth=1
	s_and_not1_saveexec_b32 s0, s6
	s_delay_alu instid0(SALU_CYCLE_1)
	s_or_b32 exec_lo, exec_lo, s0
.LBB31_78:                              ;   in Loop: Header=BB31_18 Depth=1
	s_and_not1_saveexec_b32 s0, s5
	s_delay_alu instid0(SALU_CYCLE_1) | instskip(SKIP_4) | instid1(VALU_DEP_1)
	s_or_b32 exec_lo, exec_lo, s0
	v_mul_f32_e32 v2, v3, v28
	global_store_b8 v[9:10], v1, off offset:5
	s_mov_b32 s0, exec_lo
	v_mul_f32_e32 v2, v2, v7
	v_mul_f32_e32 v2, v29, v2
	s_delay_alu instid0(VALU_DEP_1) | instskip(NEXT) | instid1(VALU_DEP_1)
	v_minmax_f32 v5, v2, s4, 0xc3600000
	v_lshrrev_b32_e32 v3, 24, v5
	v_and_b32_e32 v18, 0x7f800000, v5
	s_delay_alu instid0(VALU_DEP_2) | instskip(NEXT) | instid1(VALU_DEP_2)
	v_or_b32_e32 v2, 0x7f, v3
	v_cmpx_ne_u64_e32 0x7f800000, v[18:19]
	s_xor_b32 s5, exec_lo, s0
	s_cbranch_execz .LBB31_88
; %bb.79:                               ;   in Loop: Header=BB31_18 Depth=1
	v_and_b32_e32 v18, 0x7fffffff, v5
	s_mov_b32 s0, exec_lo
	s_delay_alu instid0(VALU_DEP_1)
	v_cmpx_gt_u64_e32 0x43700001, v[18:19]
	s_xor_b32 s6, exec_lo, s0
	s_cbranch_execz .LBB31_87
; %bb.80:                               ;   in Loop: Header=BB31_18 Depth=1
	v_mov_b32_e32 v2, 0
	s_mov_b32 s7, exec_lo
	v_cmpx_ne_u32_e32 0, v5
	s_cbranch_execz .LBB31_86
; %bb.81:                               ;   in Loop: Header=BB31_18 Depth=1
	v_bfe_u32 v7, v5, 23, 8
	v_and_b32_e32 v2, 0x7fffff, v5
	s_delay_alu instid0(VALU_DEP_2) | instskip(SKIP_2) | instid1(VALU_DEP_3)
	v_sub_nc_u32_e64 v1, 0x78, v7 clamp
	v_cmp_eq_u32_e32 vcc_lo, 0, v7
	v_add_nc_u32_e32 v7, 0xffffff89, v7
	v_cndmask_b32_e64 v13, v1, 0x77, vcc_lo
	v_or_b32_e32 v1, 0x800000, v2
	s_delay_alu instid0(VALU_DEP_1) | instskip(NEXT) | instid1(VALU_DEP_1)
	v_dual_cndmask_b32 v18, v1, v2 :: v_dual_add_nc_u32 v5, 20, v13
	v_lshlrev_b64 v[1:2], v5, -1
	v_dual_mov_b32 v2, v19 :: v_dual_add_nc_u32 v5, 19, v13
	s_delay_alu instid0(VALU_DEP_3) | instskip(NEXT) | instid1(VALU_DEP_2)
	v_lshrrev_b64 v[11:12], v13, v[18:19]
	v_lshlrev_b64 v[5:6], v5, 1
	s_delay_alu instid0(VALU_DEP_4) | instskip(NEXT) | instid1(VALU_DEP_1)
	v_not_b32_e32 v1, v1
	v_and_b32_e32 v1, v18, v1
	s_delay_alu instid0(VALU_DEP_4) | instskip(NEXT) | instid1(VALU_DEP_2)
	v_and_b32_e32 v18, 0x100000, v11
	v_cmp_eq_u64_e64 s0, v[1:2], v[5:6]
	s_delay_alu instid0(VALU_DEP_2) | instskip(SKIP_2) | instid1(VALU_DEP_3)
	v_cmp_eq_u64_e64 s1, 0, v[18:19]
	v_cndmask_b32_e64 v1, v7, 0xffffff8a, vcc_lo
	v_lshrrev_b32_e32 v2, 23, v11
	s_and_b32 vcc_lo, s1, s0
	s_delay_alu instid0(VALU_DEP_1) | instskip(SKIP_2) | instid1(VALU_DEP_2)
	v_add3_u32 v6, v1, v13, v2
	v_subrev_co_ci_u32_e32 v5, vcc_lo, 0, v11, vcc_lo
	s_mov_b32 s0, exec_lo
	v_add_nc_u32_e32 v7, -1, v6
	s_delay_alu instid0(VALU_DEP_2) | instskip(NEXT) | instid1(VALU_DEP_1)
	v_and_b32_e32 v1, 0xfffff, v5
                                        ; implicit-def: $vgpr5
	v_add_co_u32 v1, vcc_lo, v1, v11
	v_add_co_ci_u32_e32 v2, vcc_lo, 0, v12, vcc_lo
	s_delay_alu instid0(VALU_DEP_4)
	v_cmpx_ne_u32_e32 0, v7
	s_xor_b32 s0, exec_lo, s0
; %bb.82:                               ;   in Loop: Header=BB31_18 Depth=1
	s_delay_alu instid0(VALU_DEP_3) | instskip(SKIP_1) | instid1(VALU_DEP_2)
	v_and_b32_e32 v18, 0x1000000, v1
	v_bfe_u32 v5, v1, 24, 1
	v_cmp_eq_u64_e32 vcc_lo, 0, v[18:19]
	s_delay_alu instid0(VALU_DEP_2)
	v_lshrrev_b64 v[1:2], v5, v[1:2]
	v_cndmask_b32_e32 v5, v6, v7, vcc_lo
; %bb.83:                               ;   in Loop: Header=BB31_18 Depth=1
	s_and_not1_saveexec_b32 s0, s0
; %bb.84:                               ;   in Loop: Header=BB31_18 Depth=1
	s_delay_alu instid0(VALU_DEP_2)
	v_bfe_u32 v5, v1, 23, 1
; %bb.85:                               ;   in Loop: Header=BB31_18 Depth=1
	s_or_b32 exec_lo, exec_lo, s0
	s_delay_alu instid0(VALU_DEP_3) | instskip(NEXT) | instid1(VALU_DEP_2)
	v_lshrrev_b64 v[1:2], 20, v[1:2]
	v_cmp_gt_i32_e32 vcc_lo, 16, v5
	v_and_b32_e32 v3, 0x80, v3
	v_min_i32_e32 v6, 15, v5
	v_cmp_eq_u32_e64 s0, 0, v5
	v_dual_cndmask_b32 v2, 0, v2 :: v_dual_cndmask_b32 v1, 7, v1
	s_delay_alu instid0(VALU_DEP_3) | instskip(NEXT) | instid1(VALU_DEP_2)
	v_lshl_or_b32 v3, v6, 3, v3
	v_cmp_eq_u64_e32 vcc_lo, 0, v[1:2]
	s_delay_alu instid0(VALU_DEP_2)
	v_and_or_b32 v1, v1, 7, v3
	s_and_b32 s0, s0, vcc_lo
	s_delay_alu instid0(VALU_DEP_1) | instid1(SALU_CYCLE_1)
	v_cndmask_b32_e64 v2, v1, 0, s0
.LBB31_86:                              ;   in Loop: Header=BB31_18 Depth=1
	s_or_b32 exec_lo, exec_lo, s7
.LBB31_87:                              ;   in Loop: Header=BB31_18 Depth=1
	s_and_not1_saveexec_b32 s0, s6
	s_delay_alu instid0(SALU_CYCLE_1)
	s_or_b32 exec_lo, exec_lo, s0
.LBB31_88:                              ;   in Loop: Header=BB31_18 Depth=1
	s_and_not1_saveexec_b32 s0, s5
	s_delay_alu instid0(SALU_CYCLE_1) | instskip(SKIP_4) | instid1(VALU_DEP_1)
	s_or_b32 exec_lo, exec_lo, s0
	v_mul_f32_e32 v1, v4, v28
	global_store_b8 v[9:10], v2, off offset:6
	s_mov_b32 s0, exec_lo
	v_mul_f32_e32 v1, v1, v8
	v_mul_f32_e32 v1, v29, v1
	s_delay_alu instid0(VALU_DEP_1) | instskip(NEXT) | instid1(VALU_DEP_1)
	v_minmax_f32 v4, v1, s4, 0xc3600000
	v_and_b32_e32 v18, 0x7f800000, v4
	v_lshrrev_b32_e32 v3, 24, v4
	s_delay_alu instid0(VALU_DEP_1) | instskip(NEXT) | instid1(VALU_DEP_3)
	v_or_b32_e32 v1, 0x7f, v3
	v_cmpx_ne_u64_e32 0x7f800000, v[18:19]
	s_xor_b32 s5, exec_lo, s0
	s_cbranch_execz .LBB31_17
; %bb.89:                               ;   in Loop: Header=BB31_18 Depth=1
	v_and_b32_e32 v18, 0x7fffffff, v4
	s_mov_b32 s0, exec_lo
	s_delay_alu instid0(VALU_DEP_1)
	v_cmpx_gt_u64_e32 0x43700001, v[18:19]
	s_xor_b32 s6, exec_lo, s0
	s_cbranch_execz .LBB31_16
; %bb.90:                               ;   in Loop: Header=BB31_18 Depth=1
	v_mov_b32_e32 v1, 0
	s_mov_b32 s7, exec_lo
	v_cmpx_ne_u32_e32 0, v4
	s_cbranch_execz .LBB31_15
; %bb.91:                               ;   in Loop: Header=BB31_18 Depth=1
	v_bfe_u32 v6, v4, 23, 8
	v_and_b32_e32 v2, 0x7fffff, v4
	s_delay_alu instid0(VALU_DEP_2) | instskip(SKIP_2) | instid1(VALU_DEP_3)
	v_sub_nc_u32_e64 v1, 0x78, v6 clamp
	v_cmp_eq_u32_e32 vcc_lo, 0, v6
	v_add_nc_u32_e32 v6, 0xffffff89, v6
	v_cndmask_b32_e64 v11, v1, 0x77, vcc_lo
	v_or_b32_e32 v1, 0x800000, v2
	s_delay_alu instid0(VALU_DEP_2) | instskip(NEXT) | instid1(VALU_DEP_2)
	v_add_nc_u32_e32 v4, 20, v11
	v_cndmask_b32_e32 v18, v1, v2, vcc_lo
	s_delay_alu instid0(VALU_DEP_2) | instskip(SKIP_1) | instid1(VALU_DEP_3)
	v_lshlrev_b64 v[1:2], v4, -1
	v_add_nc_u32_e32 v4, 19, v11
	v_lshrrev_b64 v[7:8], v11, v[18:19]
	s_delay_alu instid0(VALU_DEP_2) | instskip(NEXT) | instid1(VALU_DEP_4)
	v_lshlrev_b64 v[4:5], v4, 1
	v_not_b32_e32 v1, v1
	s_delay_alu instid0(VALU_DEP_1) | instskip(NEXT) | instid1(VALU_DEP_4)
	v_dual_mov_b32 v2, v19 :: v_dual_and_b32 v1, v18, v1
	v_and_b32_e32 v18, 0x100000, v7
	s_delay_alu instid0(VALU_DEP_2) | instskip(NEXT) | instid1(VALU_DEP_2)
	v_cmp_eq_u64_e64 s0, v[1:2], v[4:5]
	v_cmp_eq_u64_e64 s1, 0, v[18:19]
	v_cndmask_b32_e64 v1, v6, 0xffffff8a, vcc_lo
	v_lshrrev_b32_e32 v2, 23, v7
	s_delay_alu instid0(VALU_DEP_3) | instskip(NEXT) | instid1(VALU_DEP_1)
	s_and_b32 vcc_lo, s1, s0
	v_add3_u32 v5, v1, v11, v2
	v_subrev_co_ci_u32_e32 v4, vcc_lo, 0, v7, vcc_lo
	s_mov_b32 s0, exec_lo
	s_delay_alu instid0(VALU_DEP_2) | instskip(NEXT) | instid1(VALU_DEP_2)
	v_add_nc_u32_e32 v6, -1, v5
	v_and_b32_e32 v1, 0xfffff, v4
                                        ; implicit-def: $vgpr4
	s_delay_alu instid0(VALU_DEP_1) | instskip(SKIP_1) | instid1(VALU_DEP_4)
	v_add_co_u32 v1, vcc_lo, v1, v7
	v_add_co_ci_u32_e32 v2, vcc_lo, 0, v8, vcc_lo
	v_cmpx_ne_u32_e32 0, v6
	s_xor_b32 s0, exec_lo, s0
; %bb.92:                               ;   in Loop: Header=BB31_18 Depth=1
	s_delay_alu instid0(VALU_DEP_3) | instskip(SKIP_1) | instid1(VALU_DEP_2)
	v_and_b32_e32 v18, 0x1000000, v1
	v_bfe_u32 v4, v1, 24, 1
	v_cmp_eq_u64_e32 vcc_lo, 0, v[18:19]
	s_delay_alu instid0(VALU_DEP_2)
	v_lshrrev_b64 v[1:2], v4, v[1:2]
	v_cndmask_b32_e32 v4, v5, v6, vcc_lo
; %bb.93:                               ;   in Loop: Header=BB31_18 Depth=1
	s_and_not1_saveexec_b32 s0, s0
	s_cbranch_execz .LBB31_14
; %bb.94:                               ;   in Loop: Header=BB31_18 Depth=1
	s_delay_alu instid0(VALU_DEP_2)
	v_bfe_u32 v4, v1, 23, 1
	s_branch .LBB31_14
.LBB31_95:
	s_nop 0
	s_sendmsg sendmsg(MSG_DEALLOC_VGPRS)
	s_endpgm
	.section	.rodata,"a",@progbits
	.p2align	6, 0x0
	.amdhsa_kernel _ZN4vllm42fused_add_rms_norm_static_fp8_quant_kernelIfLi8EN3c1015Float8_e4m3fnuzEEENSt9enable_ifIXaagtT0_Li0Esr12_typeConvertIT_EE6existsEvE4typeEPT1_PS4_iS9_PKS4_PKffii
		.amdhsa_group_segment_fixed_size 132
		.amdhsa_private_segment_fixed_size 0
		.amdhsa_kernarg_size 320
		.amdhsa_user_sgpr_count 15
		.amdhsa_user_sgpr_dispatch_ptr 0
		.amdhsa_user_sgpr_queue_ptr 0
		.amdhsa_user_sgpr_kernarg_segment_ptr 1
		.amdhsa_user_sgpr_dispatch_id 0
		.amdhsa_user_sgpr_private_segment_size 0
		.amdhsa_wavefront_size32 1
		.amdhsa_uses_dynamic_stack 0
		.amdhsa_enable_private_segment 0
		.amdhsa_system_sgpr_workgroup_id_x 1
		.amdhsa_system_sgpr_workgroup_id_y 0
		.amdhsa_system_sgpr_workgroup_id_z 0
		.amdhsa_system_sgpr_workgroup_info 0
		.amdhsa_system_vgpr_workitem_id 0
		.amdhsa_next_free_vgpr 35
		.amdhsa_next_free_sgpr 21
		.amdhsa_reserve_vcc 1
		.amdhsa_float_round_mode_32 0
		.amdhsa_float_round_mode_16_64 0
		.amdhsa_float_denorm_mode_32 3
		.amdhsa_float_denorm_mode_16_64 3
		.amdhsa_dx10_clamp 1
		.amdhsa_ieee_mode 1
		.amdhsa_fp16_overflow 0
		.amdhsa_workgroup_processor_mode 1
		.amdhsa_memory_ordered 1
		.amdhsa_forward_progress 0
		.amdhsa_shared_vgpr_count 0
		.amdhsa_exception_fp_ieee_invalid_op 0
		.amdhsa_exception_fp_denorm_src 0
		.amdhsa_exception_fp_ieee_div_zero 0
		.amdhsa_exception_fp_ieee_overflow 0
		.amdhsa_exception_fp_ieee_underflow 0
		.amdhsa_exception_fp_ieee_inexact 0
		.amdhsa_exception_int_div_zero 0
	.end_amdhsa_kernel
	.section	.text._ZN4vllm42fused_add_rms_norm_static_fp8_quant_kernelIfLi8EN3c1015Float8_e4m3fnuzEEENSt9enable_ifIXaagtT0_Li0Esr12_typeConvertIT_EE6existsEvE4typeEPT1_PS4_iS9_PKS4_PKffii,"axG",@progbits,_ZN4vllm42fused_add_rms_norm_static_fp8_quant_kernelIfLi8EN3c1015Float8_e4m3fnuzEEENSt9enable_ifIXaagtT0_Li0Esr12_typeConvertIT_EE6existsEvE4typeEPT1_PS4_iS9_PKS4_PKffii,comdat
.Lfunc_end31:
	.size	_ZN4vllm42fused_add_rms_norm_static_fp8_quant_kernelIfLi8EN3c1015Float8_e4m3fnuzEEENSt9enable_ifIXaagtT0_Li0Esr12_typeConvertIT_EE6existsEvE4typeEPT1_PS4_iS9_PKS4_PKffii, .Lfunc_end31-_ZN4vllm42fused_add_rms_norm_static_fp8_quant_kernelIfLi8EN3c1015Float8_e4m3fnuzEEENSt9enable_ifIXaagtT0_Li0Esr12_typeConvertIT_EE6existsEvE4typeEPT1_PS4_iS9_PKS4_PKffii
                                        ; -- End function
	.section	.AMDGPU.csdata,"",@progbits
; Kernel info:
; codeLenInByte = 5952
; NumSgprs: 23
; NumVgprs: 35
; ScratchSize: 0
; MemoryBound: 1
; FloatMode: 240
; IeeeMode: 1
; LDSByteSize: 132 bytes/workgroup (compile time only)
; SGPRBlocks: 2
; VGPRBlocks: 4
; NumSGPRsForWavesPerEU: 23
; NumVGPRsForWavesPerEU: 35
; Occupancy: 16
; WaveLimiterHint : 0
; COMPUTE_PGM_RSRC2:SCRATCH_EN: 0
; COMPUTE_PGM_RSRC2:USER_SGPR: 15
; COMPUTE_PGM_RSRC2:TRAP_HANDLER: 0
; COMPUTE_PGM_RSRC2:TGID_X_EN: 1
; COMPUTE_PGM_RSRC2:TGID_Y_EN: 0
; COMPUTE_PGM_RSRC2:TGID_Z_EN: 0
; COMPUTE_PGM_RSRC2:TIDIG_COMP_CNT: 0
	.section	.text._ZN4vllm42fused_add_rms_norm_static_fp8_quant_kernelIN3c104HalfELi8ENS1_13Float8_e4m3fnEEENSt9enable_ifIXaagtT0_Li0Esr12_typeConvertIT_EE6existsEvE4typeEPT1_PS5_iSA_PKS5_PKffii,"axG",@progbits,_ZN4vllm42fused_add_rms_norm_static_fp8_quant_kernelIN3c104HalfELi8ENS1_13Float8_e4m3fnEEENSt9enable_ifIXaagtT0_Li0Esr12_typeConvertIT_EE6existsEvE4typeEPT1_PS5_iSA_PKS5_PKffii,comdat
	.protected	_ZN4vllm42fused_add_rms_norm_static_fp8_quant_kernelIN3c104HalfELi8ENS1_13Float8_e4m3fnEEENSt9enable_ifIXaagtT0_Li0Esr12_typeConvertIT_EE6existsEvE4typeEPT1_PS5_iSA_PKS5_PKffii ; -- Begin function _ZN4vllm42fused_add_rms_norm_static_fp8_quant_kernelIN3c104HalfELi8ENS1_13Float8_e4m3fnEEENSt9enable_ifIXaagtT0_Li0Esr12_typeConvertIT_EE6existsEvE4typeEPT1_PS5_iSA_PKS5_PKffii
	.globl	_ZN4vllm42fused_add_rms_norm_static_fp8_quant_kernelIN3c104HalfELi8ENS1_13Float8_e4m3fnEEENSt9enable_ifIXaagtT0_Li0Esr12_typeConvertIT_EE6existsEvE4typeEPT1_PS5_iSA_PKS5_PKffii
	.p2align	8
	.type	_ZN4vllm42fused_add_rms_norm_static_fp8_quant_kernelIN3c104HalfELi8ENS1_13Float8_e4m3fnEEENSt9enable_ifIXaagtT0_Li0Esr12_typeConvertIT_EE6existsEvE4typeEPT1_PS5_iSA_PKS5_PKffii,@function
_ZN4vllm42fused_add_rms_norm_static_fp8_quant_kernelIN3c104HalfELi8ENS1_13Float8_e4m3fnEEENSt9enable_ifIXaagtT0_Li0Esr12_typeConvertIT_EE6existsEvE4typeEPT1_PS5_iSA_PKS5_PKffii: ; @_ZN4vllm42fused_add_rms_norm_static_fp8_quant_kernelIN3c104HalfELi8ENS1_13Float8_e4m3fnEEENSt9enable_ifIXaagtT0_Li0Esr12_typeConvertIT_EE6existsEvE4typeEPT1_PS5_iSA_PKS5_PKffii
; %bb.0:
	s_clause 0x1
	s_load_b32 s16, s[0:1], 0x38
	s_load_b64 s[8:9], s[0:1], 0x18
	s_mov_b32 s4, exec_lo
                                        ; implicit-def: $sgpr13
                                        ; implicit-def: $sgpr12
	s_waitcnt lgkmcnt(0)
	s_ashr_i32 s2, s16, 31
	s_delay_alu instid0(SALU_CYCLE_1) | instskip(NEXT) | instid1(SALU_CYCLE_1)
	s_lshr_b32 s2, s2, 29
	s_add_i32 s2, s16, s2
	s_delay_alu instid0(SALU_CYCLE_1) | instskip(NEXT) | instid1(SALU_CYCLE_1)
	s_ashr_i32 s3, s2, 3
	v_cmp_gt_i32_e64 s2, s3, v0
	v_cmpx_le_i32_e64 s3, v0
	s_xor_b32 s4, exec_lo, s4
	s_cbranch_execz .LBB32_2
; %bb.1:
	s_load_b32 s5, s[0:1], 0x4c
	s_mov_b32 s13, 0
	s_waitcnt lgkmcnt(0)
	s_and_b32 s12, s5, 0xffff
.LBB32_2:
	s_or_saveexec_b32 s17, s4
	s_clause 0x1
	s_load_b64 s[10:11], s[0:1], 0x0
	s_load_b128 s[4:7], s[0:1], 0x20
	v_mov_b32_e32 v1, s13
	v_mov_b32_e32 v9, s12
	s_mul_i32 s14, s3, s15
	s_xor_b32 exec_lo, exec_lo, s17
	s_cbranch_execz .LBB32_6
; %bb.3:
	s_clause 0x2
	s_load_b32 s18, s[0:1], 0x10
	s_load_b32 s19, s[0:1], 0x4c
	s_load_b64 s[12:13], s[0:1], 0x8
	v_dual_mov_b32 v1, 0 :: v_dual_mov_b32 v2, v0
	s_waitcnt lgkmcnt(0)
	s_ashr_i32 s20, s18, 31
	s_delay_alu instid0(SALU_CYCLE_1) | instskip(NEXT) | instid1(SALU_CYCLE_1)
	s_lshr_b32 s20, s20, 29
	s_add_i32 s18, s18, s20
	s_delay_alu instid0(SALU_CYCLE_1)
	s_ashr_i32 s20, s18, 3
	s_and_b32 s18, s19, 0xffff
	s_mul_i32 s19, s20, s15
	s_mov_b32 s15, 0
.LBB32_4:                               ; =>This Inner Loop Header: Depth=1
	v_add_nc_u32_e32 v3, s19, v2
	v_add_nc_u32_e32 v5, s14, v2
	;; [unrolled: 1-line block ×3, first 2 shown]
	s_delay_alu instid0(VALU_DEP_3) | instskip(NEXT) | instid1(VALU_DEP_3)
	v_ashrrev_i32_e32 v4, 31, v3
	v_ashrrev_i32_e32 v6, 31, v5
	s_delay_alu instid0(VALU_DEP_2) | instskip(NEXT) | instid1(VALU_DEP_2)
	v_lshlrev_b64 v[3:4], 4, v[3:4]
	v_lshlrev_b64 v[5:6], 4, v[5:6]
	s_delay_alu instid0(VALU_DEP_2) | instskip(NEXT) | instid1(VALU_DEP_3)
	v_add_co_u32 v3, vcc_lo, s12, v3
	v_add_co_ci_u32_e32 v4, vcc_lo, s13, v4, vcc_lo
	s_delay_alu instid0(VALU_DEP_3) | instskip(NEXT) | instid1(VALU_DEP_4)
	v_add_co_u32 v11, vcc_lo, s8, v5
	v_add_co_ci_u32_e32 v12, vcc_lo, s9, v6, vcc_lo
	global_load_b128 v[3:6], v[3:4], off
	global_load_b128 v[7:10], v[11:12], off
	v_cmp_le_i32_e32 vcc_lo, s3, v2
	s_or_b32 s15, vcc_lo, s15
	s_waitcnt vmcnt(0)
	v_pk_add_f16 v3, v3, v7
	v_pk_add_f16 v4, v4, v8
	;; [unrolled: 1-line block ×4, first 2 shown]
	s_delay_alu instid0(VALU_DEP_4) | instskip(NEXT) | instid1(VALU_DEP_4)
	v_lshrrev_b32_e32 v7, 16, v3
	v_lshrrev_b32_e32 v8, 16, v4
	s_delay_alu instid0(VALU_DEP_4) | instskip(NEXT) | instid1(VALU_DEP_4)
	v_lshrrev_b32_e32 v9, 16, v5
	v_lshrrev_b32_e32 v10, 16, v6
	global_store_b128 v[11:12], v[3:6], off
	v_cvt_f32_f16_e32 v7, v7
	v_cvt_f32_f16_e32 v8, v8
	;; [unrolled: 1-line block ×4, first 2 shown]
	s_delay_alu instid0(VALU_DEP_3) | instskip(NEXT) | instid1(VALU_DEP_2)
	v_dual_mul_f32 v7, v7, v7 :: v_dual_mul_f32 v8, v8, v8
	v_dual_mul_f32 v9, v9, v9 :: v_dual_mul_f32 v10, v10, v10
	s_delay_alu instid0(VALU_DEP_2) | instskip(NEXT) | instid1(VALU_DEP_3)
	v_fma_mix_f32 v7, v3, v3, v7 op_sel_hi:[1,1,0]
	v_fma_mix_f32 v8, v4, v4, v8 op_sel_hi:[1,1,0]
	s_delay_alu instid0(VALU_DEP_3) | instskip(NEXT) | instid1(VALU_DEP_2)
	v_fma_mix_f32 v9, v5, v5, v9 op_sel_hi:[1,1,0]
	v_add_f32_e32 v7, v7, v8
	v_fma_mix_f32 v8, v6, v6, v10 op_sel_hi:[1,1,0]
	s_delay_alu instid0(VALU_DEP_2) | instskip(NEXT) | instid1(VALU_DEP_1)
	v_add_f32_e32 v7, v7, v9
	v_add_f32_e32 v7, v7, v8
	s_delay_alu instid0(VALU_DEP_1)
	v_add_f32_e32 v1, v1, v7
	s_and_not1_b32 exec_lo, exec_lo, s15
	s_cbranch_execnz .LBB32_4
; %bb.5:
	s_or_b32 exec_lo, exec_lo, s15
	v_mov_b32_e32 v9, s18
.LBB32_6:
	s_or_b32 exec_lo, exec_lo, s17
	v_mbcnt_lo_u32_b32 v2, -1, 0
	s_mov_b32 s12, exec_lo
	s_delay_alu instid0(VALU_DEP_1) | instskip(SKIP_2) | instid1(VALU_DEP_2)
	v_cmp_ne_u32_e32 vcc_lo, 31, v2
	v_add_co_ci_u32_e32 v3, vcc_lo, 0, v2, vcc_lo
	v_cmp_gt_u32_e32 vcc_lo, 30, v2
	v_lshlrev_b32_e32 v3, 2, v3
	v_cndmask_b32_e64 v6, 0, 1, vcc_lo
	ds_bpermute_b32 v5, v3, v1
	s_waitcnt lgkmcnt(0)
	v_dual_add_f32 v7, v1, v5 :: v_dual_and_b32 v4, 0x3e0, v0
	s_delay_alu instid0(VALU_DEP_1) | instskip(SKIP_1) | instid1(VALU_DEP_1)
	v_sub_nc_u32_e64 v13, v9, v4 clamp
	v_add_nc_u32_e32 v4, 1, v2
	v_cmp_lt_u32_e32 vcc_lo, v4, v13
	s_delay_alu instid0(VALU_DEP_4) | instskip(NEXT) | instid1(VALU_DEP_1)
	v_dual_cndmask_b32 v7, v1, v7 :: v_dual_lshlrev_b32 v6, 1, v6
	v_add_lshl_u32 v5, v6, v2, 2
	v_cmp_gt_u32_e32 vcc_lo, 28, v2
	ds_bpermute_b32 v6, v5, v7
	v_cndmask_b32_e64 v1, 0, 1, vcc_lo
	s_delay_alu instid0(VALU_DEP_1) | instskip(SKIP_1) | instid1(VALU_DEP_1)
	v_lshlrev_b32_e32 v8, 2, v1
	v_add_nc_u32_e32 v1, 2, v2
	v_cmp_lt_u32_e32 vcc_lo, v1, v13
	s_waitcnt lgkmcnt(0)
	v_add_f32_e32 v10, v7, v6
	v_add_lshl_u32 v6, v8, v2, 2
	s_delay_alu instid0(VALU_DEP_2) | instskip(SKIP_2) | instid1(VALU_DEP_1)
	v_cndmask_b32_e32 v10, v7, v10, vcc_lo
	v_cmp_gt_u32_e32 vcc_lo, 24, v2
	v_cndmask_b32_e64 v7, 0, 1, vcc_lo
	v_lshlrev_b32_e32 v11, 3, v7
	ds_bpermute_b32 v8, v6, v10
	s_waitcnt lgkmcnt(0)
	v_dual_add_f32 v12, v10, v8 :: v_dual_add_nc_u32 v7, 4, v2
	v_add_lshl_u32 v8, v11, v2, 2
	s_delay_alu instid0(VALU_DEP_2) | instskip(NEXT) | instid1(VALU_DEP_3)
	v_cmp_lt_u32_e32 vcc_lo, v7, v13
	v_cndmask_b32_e32 v12, v10, v12, vcc_lo
	v_cmp_gt_u32_e32 vcc_lo, 16, v2
	ds_bpermute_b32 v11, v8, v12
	v_cndmask_b32_e64 v10, 0, 1, vcc_lo
	s_delay_alu instid0(VALU_DEP_1) | instskip(SKIP_1) | instid1(VALU_DEP_1)
	v_lshlrev_b32_e32 v14, 4, v10
	v_add_nc_u32_e32 v10, 8, v2
	v_cmp_lt_u32_e32 vcc_lo, v10, v13
	s_waitcnt lgkmcnt(0)
	v_add_f32_e32 v15, v12, v11
	v_add_lshl_u32 v11, v14, v2, 2
	s_delay_alu instid0(VALU_DEP_2)
	v_cndmask_b32_e32 v14, v12, v15, vcc_lo
	v_add_nc_u32_e32 v12, 16, v2
	ds_bpermute_b32 v15, v11, v14
	v_cmp_lt_u32_e32 vcc_lo, v12, v13
	s_waitcnt lgkmcnt(0)
	v_add_f32_e32 v15, v14, v15
	s_delay_alu instid0(VALU_DEP_1)
	v_cndmask_b32_e32 v13, v14, v15, vcc_lo
	v_cmpx_eq_u32_e32 0, v2
	s_cbranch_execz .LBB32_8
; %bb.7:
	v_lshrrev_b32_e32 v14, 3, v0
	s_delay_alu instid0(VALU_DEP_1)
	v_and_b32_e32 v14, 0x7c, v14
	ds_store_b32 v14, v13
.LBB32_8:
	s_or_b32 exec_lo, exec_lo, s12
	s_delay_alu instid0(SALU_CYCLE_1)
	s_mov_b32 s12, exec_lo
	s_waitcnt lgkmcnt(0)
	s_waitcnt_vscnt null, 0x0
	s_barrier
	buffer_gl0_inv
	v_cmpx_gt_u32_e32 32, v0
	s_cbranch_execz .LBB32_10
; %bb.9:
	v_lshlrev_b32_e32 v2, 2, v2
	ds_load_b32 v2, v2
	s_waitcnt lgkmcnt(0)
	ds_bpermute_b32 v3, v3, v2
	s_waitcnt lgkmcnt(0)
	v_add_f32_e32 v3, v2, v3
	v_add_nc_u32_e32 v13, 31, v9
	s_delay_alu instid0(VALU_DEP_1) | instskip(NEXT) | instid1(VALU_DEP_1)
	v_lshrrev_b32_e32 v13, 5, v13
	v_cmp_lt_u32_e32 vcc_lo, v4, v13
	s_delay_alu instid0(VALU_DEP_4) | instskip(SKIP_4) | instid1(VALU_DEP_1)
	v_cndmask_b32_e32 v2, v2, v3, vcc_lo
	v_cmp_lt_u32_e32 vcc_lo, v1, v13
	ds_bpermute_b32 v3, v5, v2
	s_waitcnt lgkmcnt(0)
	v_add_f32_e32 v3, v2, v3
	v_cndmask_b32_e32 v1, v2, v3, vcc_lo
	v_cmp_lt_u32_e32 vcc_lo, v7, v13
	ds_bpermute_b32 v2, v6, v1
	s_waitcnt lgkmcnt(0)
	v_add_f32_e32 v2, v1, v2
	s_delay_alu instid0(VALU_DEP_1) | instskip(SKIP_4) | instid1(VALU_DEP_1)
	v_cndmask_b32_e32 v1, v1, v2, vcc_lo
	v_cmp_lt_u32_e32 vcc_lo, v10, v13
	ds_bpermute_b32 v2, v8, v1
	s_waitcnt lgkmcnt(0)
	v_add_f32_e32 v2, v1, v2
	v_cndmask_b32_e32 v1, v1, v2, vcc_lo
	v_cmp_lt_u32_e32 vcc_lo, v12, v13
	ds_bpermute_b32 v2, v11, v1
	s_waitcnt lgkmcnt(0)
	v_add_f32_e32 v2, v1, v2
	s_delay_alu instid0(VALU_DEP_1)
	v_cndmask_b32_e32 v13, v1, v2, vcc_lo
.LBB32_10:
	s_or_b32 exec_lo, exec_lo, s12
	s_delay_alu instid0(SALU_CYCLE_1)
	s_mov_b32 s12, exec_lo
	v_cmpx_eq_u32_e32 0, v0
	s_cbranch_execz .LBB32_12
; %bb.11:
	v_cvt_f32_i32_e32 v1, s16
	s_load_b32 s0, s[0:1], 0x30
	s_delay_alu instid0(VALU_DEP_1) | instskip(SKIP_1) | instid1(VALU_DEP_2)
	v_div_scale_f32 v2, null, v1, v1, v13
	v_div_scale_f32 v5, vcc_lo, v13, v1, v13
	v_rcp_f32_e32 v3, v2
	s_waitcnt_depctr 0xfff
	v_fma_f32 v4, -v2, v3, 1.0
	s_delay_alu instid0(VALU_DEP_1) | instskip(NEXT) | instid1(VALU_DEP_1)
	v_fmac_f32_e32 v3, v4, v3
	v_mul_f32_e32 v4, v5, v3
	s_delay_alu instid0(VALU_DEP_1) | instskip(NEXT) | instid1(VALU_DEP_1)
	v_fma_f32 v6, -v2, v4, v5
	v_fmac_f32_e32 v4, v6, v3
	s_delay_alu instid0(VALU_DEP_1) | instskip(NEXT) | instid1(VALU_DEP_1)
	v_fma_f32 v2, -v2, v4, v5
	v_div_fmas_f32 v2, v2, v3, v4
	s_delay_alu instid0(VALU_DEP_1) | instskip(SKIP_1) | instid1(VALU_DEP_1)
	v_div_fixup_f32 v1, v2, v1, v13
	s_waitcnt lgkmcnt(0)
	v_add_f32_e32 v1, s0, v1
	s_delay_alu instid0(VALU_DEP_1) | instskip(SKIP_1) | instid1(VALU_DEP_2)
	v_mul_f32_e32 v2, 0x4b800000, v1
	v_cmp_gt_f32_e32 vcc_lo, 0x800000, v1
	v_cndmask_b32_e32 v1, v1, v2, vcc_lo
	s_delay_alu instid0(VALU_DEP_1) | instskip(SKIP_2) | instid1(VALU_DEP_1)
	v_rsq_f32_e32 v1, v1
	s_waitcnt_depctr 0xfff
	v_mul_f32_e32 v2, 0x45800000, v1
	v_dual_cndmask_b32 v1, v1, v2 :: v_dual_mov_b32 v2, 0
	ds_store_b32 v2, v1 offset:128
.LBB32_12:
	s_or_b32 exec_lo, exec_lo, s12
	s_waitcnt lgkmcnt(0)
	s_barrier
	buffer_gl0_inv
	s_and_saveexec_b32 s0, s2
	s_cbranch_execz .LBB32_143
; %bb.13:
	s_load_b32 s0, s[6:7], 0x0
	v_add_lshl_u32 v20, v0, s14, 3
	v_lshlrev_b32_e32 v21, 3, v9
	s_mov_b32 s2, 0
	v_mov_b32_e32 v11, 0
	ds_load_b32 v22, v11 offset:128
	v_mov_b32_e32 v10, v11
	s_delay_alu instid0(VALU_DEP_1) | instskip(SKIP_3) | instid1(VALU_DEP_2)
	v_lshlrev_b64 v[12:13], 4, v[9:10]
	s_waitcnt lgkmcnt(0)
	v_div_scale_f32 v1, null, s0, s0, 1.0
	v_div_scale_f32 v4, vcc_lo, 1.0, s0, 1.0
	v_rcp_f32_e32 v2, v1
	s_waitcnt_depctr 0xfff
	v_fma_f32 v3, -v1, v2, 1.0
	s_delay_alu instid0(VALU_DEP_1) | instskip(NEXT) | instid1(VALU_DEP_1)
	v_fmac_f32_e32 v2, v3, v2
	v_mul_f32_e32 v3, v4, v2
	s_delay_alu instid0(VALU_DEP_1) | instskip(NEXT) | instid1(VALU_DEP_1)
	v_fma_f32 v5, -v1, v3, v4
	v_fmac_f32_e32 v3, v5, v2
	s_delay_alu instid0(VALU_DEP_1) | instskip(SKIP_1) | instid1(VALU_DEP_2)
	v_fma_f32 v1, -v1, v3, v4
	v_lshlrev_b32_e32 v4, 4, v0
	v_div_fmas_f32 v1, v1, v2, v3
	s_delay_alu instid0(VALU_DEP_2) | instskip(NEXT) | instid1(VALU_DEP_1)
	v_add_co_u32 v2, s1, v4, s4
	v_add_co_ci_u32_e64 v3, null, 0, s5, s1
	s_delay_alu instid0(VALU_DEP_3) | instskip(NEXT) | instid1(VALU_DEP_3)
	v_div_fixup_f32 v23, v1, s0, 1.0
	v_add_co_u32 v14, vcc_lo, v2, 14
	s_delay_alu instid0(VALU_DEP_3)
	v_add_co_ci_u32_e32 v15, vcc_lo, 0, v3, vcc_lo
	s_mov_b32 s4, 0x43e00000
	s_branch .LBB32_15
.LBB32_14:                              ;   in Loop: Header=BB32_15 Depth=1
	s_or_b32 exec_lo, exec_lo, s0
	v_add_nc_u32_e32 v0, v0, v9
	v_add_co_u32 v14, s0, v14, v12
	v_add_nc_u32_e32 v20, v20, v21
	v_add_co_ci_u32_e64 v15, s0, v15, v13, s0
	s_delay_alu instid0(VALU_DEP_4) | instskip(SKIP_2) | instid1(SALU_CYCLE_1)
	v_cmp_le_i32_e32 vcc_lo, s3, v0
	global_store_b8 v[16:17], v4, off offset:7
	s_or_b32 s2, vcc_lo, s2
	s_and_not1_b32 exec_lo, exec_lo, s2
	s_cbranch_execz .LBB32_143
.LBB32_15:                              ; =>This Inner Loop Header: Depth=1
	v_add_nc_u32_e32 v1, s14, v0
	s_mov_b32 s0, exec_lo
	v_mov_b32_e32 v25, v11
	s_delay_alu instid0(VALU_DEP_2) | instskip(NEXT) | instid1(VALU_DEP_1)
	v_ashrrev_i32_e32 v2, 31, v1
	v_lshlrev_b64 v[1:2], 4, v[1:2]
	s_delay_alu instid0(VALU_DEP_1) | instskip(NEXT) | instid1(VALU_DEP_2)
	v_add_co_u32 v1, vcc_lo, s8, v1
	v_add_co_ci_u32_e32 v2, vcc_lo, s9, v2, vcc_lo
	global_load_b128 v[1:4], v[1:2], off
	global_load_b128 v[5:8], v[14:15], off offset:-14
	s_waitcnt vmcnt(1)
	v_fma_mixlo_f16 v10, v22, v1, 0 op_sel_hi:[0,1,0]
	s_waitcnt vmcnt(0)
	s_delay_alu instid0(VALU_DEP_1) | instskip(NEXT) | instid1(VALU_DEP_1)
	v_mul_f16_e32 v10, v5, v10
	v_cvt_f32_f16_e32 v10, v10
	s_delay_alu instid0(VALU_DEP_1) | instskip(NEXT) | instid1(VALU_DEP_1)
	v_mul_f32_e32 v10, v23, v10
	v_minmax_f32 v16, v10, s4, 0xc3e00000
	s_delay_alu instid0(VALU_DEP_1) | instskip(SKIP_2) | instid1(VALU_DEP_3)
	v_lshrrev_b32_e32 v17, 24, v16
	v_and_b32_e32 v24, 0x7f800000, v16
	v_and_b32_e32 v10, 0x7fffff, v16
	;; [unrolled: 1-line block ×3, first 2 shown]
	s_delay_alu instid0(VALU_DEP_1) | instskip(NEXT) | instid1(VALU_DEP_4)
	v_or_b32_e32 v19, 0x7e, v18
	v_cmpx_ne_u64_e32 0x7f800000, v[24:25]
	s_xor_b32 s5, exec_lo, s0
	s_cbranch_execz .LBB32_29
; %bb.16:                               ;   in Loop: Header=BB32_15 Depth=1
	v_dual_mov_b32 v25, v11 :: v_dual_and_b32 v24, 0x7fffffff, v16
	s_mov_b32 s0, exec_lo
	s_delay_alu instid0(VALU_DEP_1)
	v_cmpx_gt_u64_e32 0x43e00001, v[24:25]
	s_xor_b32 s6, exec_lo, s0
	s_cbranch_execz .LBB32_28
; %bb.17:                               ;   in Loop: Header=BB32_15 Depth=1
	v_mov_b32_e32 v19, 0
	s_mov_b32 s7, exec_lo
	v_cmpx_ne_u32_e32 0, v16
	s_cbranch_execz .LBB32_27
; %bb.18:                               ;   in Loop: Header=BB32_15 Depth=1
	v_bfe_u32 v19, v16, 23, 8
	s_delay_alu instid0(VALU_DEP_1) | instskip(SKIP_2) | instid1(VALU_DEP_3)
	v_sub_nc_u32_e64 v16, 0x79, v19 clamp
	v_cmp_eq_u32_e32 vcc_lo, 0, v19
	v_add_nc_u32_e32 v19, 0xffffff88, v19
	v_cndmask_b32_e64 v24, v16, 0x78, vcc_lo
	v_or_b32_e32 v16, 0x800000, v10
	s_delay_alu instid0(VALU_DEP_1) | instskip(SKIP_1) | instid1(VALU_DEP_2)
	v_dual_cndmask_b32 v10, v16, v10 :: v_dual_add_nc_u32 v17, 20, v24
	v_add_nc_u32_e32 v27, 19, v24
	v_lshlrev_b64 v[16:17], v17, -1
	s_delay_alu instid0(VALU_DEP_3) | instskip(NEXT) | instid1(VALU_DEP_2)
	v_lshrrev_b64 v[25:26], v24, v[10:11]
	v_not_b32_e32 v28, v17
	s_delay_alu instid0(VALU_DEP_3) | instskip(SKIP_1) | instid1(VALU_DEP_3)
	v_not_b32_e32 v29, v16
	v_lshlrev_b64 v[16:17], v27, 1
	v_and_b32_e32 v28, 0, v28
	s_delay_alu instid0(VALU_DEP_3) | instskip(SKIP_1) | instid1(VALU_DEP_2)
	v_and_b32_e32 v27, v10, v29
	v_and_b32_e32 v10, 0x100000, v25
	v_cmp_eq_u64_e64 s0, v[27:28], v[16:17]
	s_delay_alu instid0(VALU_DEP_2) | instskip(SKIP_2) | instid1(VALU_DEP_3)
	v_cmp_eq_u64_e64 s1, 0, v[10:11]
	v_cndmask_b32_e64 v10, v19, 0xffffff89, vcc_lo
	v_lshrrev_b32_e32 v16, 23, v25
	s_and_b32 vcc_lo, s1, s0
	s_delay_alu instid0(VALU_DEP_1) | instskip(SKIP_2) | instid1(VALU_DEP_2)
	v_add3_u32 v19, v10, v24, v16
	v_subrev_co_ci_u32_e32 v17, vcc_lo, 0, v25, vcc_lo
	s_mov_b32 s0, exec_lo
	v_add_nc_u32_e32 v24, -1, v19
	s_delay_alu instid0(VALU_DEP_2) | instskip(NEXT) | instid1(VALU_DEP_1)
	v_and_b32_e32 v10, 0xfffff, v17
	v_add_co_u32 v16, vcc_lo, v10, v25
	v_add_co_ci_u32_e32 v17, vcc_lo, 0, v26, vcc_lo
                                        ; implicit-def: $vgpr10
	s_delay_alu instid0(VALU_DEP_4)
	v_cmpx_ne_u32_e32 0, v24
	s_xor_b32 s0, exec_lo, s0
; %bb.19:                               ;   in Loop: Header=BB32_15 Depth=1
	s_delay_alu instid0(VALU_DEP_3) | instskip(SKIP_1) | instid1(VALU_DEP_2)
	v_and_b32_e32 v10, 0x1000000, v16
	v_bfe_u32 v25, v16, 24, 1
	v_cmp_eq_u64_e32 vcc_lo, 0, v[10:11]
	s_delay_alu instid0(VALU_DEP_2)
	v_lshrrev_b64 v[16:17], v25, v[16:17]
	v_cndmask_b32_e32 v10, v19, v24, vcc_lo
; %bb.20:                               ;   in Loop: Header=BB32_15 Depth=1
	s_and_not1_saveexec_b32 s0, s0
; %bb.21:                               ;   in Loop: Header=BB32_15 Depth=1
	s_delay_alu instid0(VALU_DEP_2)
	v_bfe_u32 v10, v16, 23, 1
; %bb.22:                               ;   in Loop: Header=BB32_15 Depth=1
	s_or_b32 exec_lo, exec_lo, s0
	s_delay_alu instid0(VALU_DEP_3) | instskip(NEXT) | instid1(VALU_DEP_2)
	v_lshrrev_b64 v[16:17], 20, v[16:17]
	v_cmp_gt_i32_e32 vcc_lo, 16, v10
	v_cmp_ne_u32_e64 s0, 0, v10
                                        ; implicit-def: $vgpr19
	s_delay_alu instid0(VALU_DEP_3) | instskip(NEXT) | instid1(VALU_DEP_1)
	v_dual_cndmask_b32 v17, 0, v17 :: v_dual_cndmask_b32 v16, 7, v16
	v_cmp_ne_u64_e32 vcc_lo, 0, v[16:17]
	s_delay_alu instid0(VALU_DEP_3) | instskip(NEXT) | instid1(SALU_CYCLE_1)
	s_or_b32 s0, s0, vcc_lo
	s_and_saveexec_b32 s1, s0
	s_delay_alu instid0(SALU_CYCLE_1)
	s_xor_b32 s0, exec_lo, s1
; %bb.23:                               ;   in Loop: Header=BB32_15 Depth=1
	v_min_i32_e32 v10, 15, v10
	s_delay_alu instid0(VALU_DEP_1) | instskip(NEXT) | instid1(VALU_DEP_1)
	v_lshl_or_b32 v10, v10, 3, v18
                                        ; implicit-def: $vgpr18
	v_and_or_b32 v19, v16, 7, v10
; %bb.24:                               ;   in Loop: Header=BB32_15 Depth=1
	s_and_not1_saveexec_b32 s0, s0
; %bb.25:                               ;   in Loop: Header=BB32_15 Depth=1
	v_mov_b32_e32 v19, v18
; %bb.26:                               ;   in Loop: Header=BB32_15 Depth=1
	s_or_b32 exec_lo, exec_lo, s0
.LBB32_27:                              ;   in Loop: Header=BB32_15 Depth=1
	s_delay_alu instid0(SALU_CYCLE_1)
	s_or_b32 exec_lo, exec_lo, s7
.LBB32_28:                              ;   in Loop: Header=BB32_15 Depth=1
	s_and_not1_saveexec_b32 s0, s6
	s_delay_alu instid0(SALU_CYCLE_1)
	s_or_b32 exec_lo, exec_lo, s0
                                        ; implicit-def: $vgpr17
.LBB32_29:                              ;   in Loop: Header=BB32_15 Depth=1
	s_and_not1_saveexec_b32 s0, s5
; %bb.30:                               ;   in Loop: Header=BB32_15 Depth=1
	v_cmp_eq_u64_e32 vcc_lo, 0, v[10:11]
	v_or_b32_e32 v16, 0x7f, v17
	s_delay_alu instid0(VALU_DEP_1)
	v_cndmask_b32_e32 v19, v16, v19, vcc_lo
; %bb.31:                               ;   in Loop: Header=BB32_15 Depth=1
	s_or_b32 exec_lo, exec_lo, s0
	v_lshrrev_b32_e32 v5, 16, v5
	v_fma_mixlo_f16 v1, v22, v1, 0 op_sel:[0,1,0] op_sel_hi:[0,1,0]
	v_add_co_u32 v16, vcc_lo, s10, v20
	s_mov_b32 s0, exec_lo
	s_delay_alu instid0(VALU_DEP_2) | instskip(SKIP_1) | instid1(VALU_DEP_2)
	v_mul_f16_e32 v1, v5, v1
	v_ashrrev_i32_e32 v5, 31, v20
	v_cvt_f32_f16_e32 v1, v1
	s_delay_alu instid0(VALU_DEP_2) | instskip(NEXT) | instid1(VALU_DEP_2)
	v_add_co_ci_u32_e32 v17, vcc_lo, s11, v5, vcc_lo
	v_mul_f32_e32 v1, v23, v1
	global_store_b8 v[16:17], v19, off
	v_minmax_f32 v18, v1, s4, 0xc3e00000
	s_delay_alu instid0(VALU_DEP_1) | instskip(SKIP_2) | instid1(VALU_DEP_2)
	v_dual_mov_b32 v26, v11 :: v_dual_and_b32 v25, 0x7f800000, v18
	v_lshrrev_b32_e32 v24, 24, v18
	v_and_b32_e32 v10, 0x7fffff, v18
	v_and_b32_e32 v1, 0x80, v24
	s_delay_alu instid0(VALU_DEP_1)
	v_or_b32_e32 v5, 0x7e, v1
	v_cmpx_ne_u64_e32 0x7f800000, v[25:26]
	s_xor_b32 s5, exec_lo, s0
	s_cbranch_execz .LBB32_45
; %bb.32:                               ;   in Loop: Header=BB32_15 Depth=1
	v_dual_mov_b32 v25, v11 :: v_dual_and_b32 v24, 0x7fffffff, v18
	s_mov_b32 s0, exec_lo
	s_delay_alu instid0(VALU_DEP_1)
	v_cmpx_gt_u64_e32 0x43e00001, v[24:25]
	s_xor_b32 s6, exec_lo, s0
	s_cbranch_execz .LBB32_44
; %bb.33:                               ;   in Loop: Header=BB32_15 Depth=1
	v_mov_b32_e32 v5, 0
	s_mov_b32 s7, exec_lo
	v_cmpx_ne_u32_e32 0, v18
	s_cbranch_execz .LBB32_43
; %bb.34:                               ;   in Loop: Header=BB32_15 Depth=1
	v_bfe_u32 v5, v18, 23, 8
	s_delay_alu instid0(VALU_DEP_1) | instskip(SKIP_2) | instid1(VALU_DEP_3)
	v_sub_nc_u32_e64 v18, 0x79, v5 clamp
	v_cmp_eq_u32_e32 vcc_lo, 0, v5
	v_add_nc_u32_e32 v5, 0xffffff88, v5
	v_cndmask_b32_e64 v24, v18, 0x78, vcc_lo
	v_or_b32_e32 v18, 0x800000, v10
	s_delay_alu instid0(VALU_DEP_3) | instskip(NEXT) | instid1(VALU_DEP_2)
	v_cndmask_b32_e64 v5, v5, 0xffffff89, vcc_lo
	v_dual_cndmask_b32 v10, v18, v10 :: v_dual_add_nc_u32 v19, 20, v24
	v_add_nc_u32_e32 v27, 19, v24
	s_delay_alu instid0(VALU_DEP_2) | instskip(NEXT) | instid1(VALU_DEP_3)
	v_lshlrev_b64 v[18:19], v19, -1
	v_lshrrev_b64 v[25:26], v24, v[10:11]
	s_delay_alu instid0(VALU_DEP_2) | instskip(NEXT) | instid1(VALU_DEP_3)
	v_not_b32_e32 v28, v19
	v_not_b32_e32 v29, v18
	v_lshlrev_b64 v[18:19], v27, 1
	s_delay_alu instid0(VALU_DEP_3) | instskip(NEXT) | instid1(VALU_DEP_3)
	v_and_b32_e32 v28, 0, v28
	v_and_b32_e32 v27, v10, v29
	;; [unrolled: 1-line block ×3, first 2 shown]
	s_delay_alu instid0(VALU_DEP_2) | instskip(NEXT) | instid1(VALU_DEP_2)
	v_cmp_eq_u64_e64 s0, v[27:28], v[18:19]
	v_cmp_eq_u64_e64 s1, 0, v[10:11]
	v_lshrrev_b32_e32 v10, 23, v25
	s_delay_alu instid0(VALU_DEP_1) | instskip(NEXT) | instid1(VALU_DEP_3)
	v_add3_u32 v5, v5, v24, v10
	s_and_b32 vcc_lo, s1, s0
	s_mov_b32 s0, exec_lo
	v_subrev_co_ci_u32_e32 v18, vcc_lo, 0, v25, vcc_lo
	s_delay_alu instid0(VALU_DEP_2) | instskip(NEXT) | instid1(VALU_DEP_2)
	v_add_nc_u32_e32 v24, -1, v5
	v_and_b32_e32 v10, 0xfffff, v18
	s_delay_alu instid0(VALU_DEP_1) | instskip(SKIP_1) | instid1(VALU_DEP_4)
	v_add_co_u32 v18, vcc_lo, v10, v25
	v_add_co_ci_u32_e32 v19, vcc_lo, 0, v26, vcc_lo
                                        ; implicit-def: $vgpr10
	v_cmpx_ne_u32_e32 0, v24
	s_xor_b32 s0, exec_lo, s0
; %bb.35:                               ;   in Loop: Header=BB32_15 Depth=1
	s_delay_alu instid0(VALU_DEP_3) | instskip(SKIP_1) | instid1(VALU_DEP_2)
	v_and_b32_e32 v10, 0x1000000, v18
	v_bfe_u32 v25, v18, 24, 1
	v_cmp_eq_u64_e32 vcc_lo, 0, v[10:11]
	s_delay_alu instid0(VALU_DEP_2)
	v_lshrrev_b64 v[18:19], v25, v[18:19]
	v_cndmask_b32_e32 v10, v5, v24, vcc_lo
; %bb.36:                               ;   in Loop: Header=BB32_15 Depth=1
	s_and_not1_saveexec_b32 s0, s0
; %bb.37:                               ;   in Loop: Header=BB32_15 Depth=1
	s_delay_alu instid0(VALU_DEP_2)
	v_bfe_u32 v10, v18, 23, 1
; %bb.38:                               ;   in Loop: Header=BB32_15 Depth=1
	s_or_b32 exec_lo, exec_lo, s0
	s_delay_alu instid0(VALU_DEP_3) | instskip(NEXT) | instid1(VALU_DEP_2)
	v_lshrrev_b64 v[18:19], 20, v[18:19]
	v_cmp_gt_i32_e32 vcc_lo, 16, v10
	v_cmp_ne_u32_e64 s0, 0, v10
                                        ; implicit-def: $vgpr5
	s_delay_alu instid0(VALU_DEP_3) | instskip(NEXT) | instid1(VALU_DEP_1)
	v_dual_cndmask_b32 v19, 0, v19 :: v_dual_cndmask_b32 v18, 7, v18
	v_cmp_ne_u64_e32 vcc_lo, 0, v[18:19]
	s_delay_alu instid0(VALU_DEP_3) | instskip(NEXT) | instid1(SALU_CYCLE_1)
	s_or_b32 s0, s0, vcc_lo
	s_and_saveexec_b32 s1, s0
	s_delay_alu instid0(SALU_CYCLE_1)
	s_xor_b32 s0, exec_lo, s1
; %bb.39:                               ;   in Loop: Header=BB32_15 Depth=1
	v_min_i32_e32 v5, 15, v10
	s_delay_alu instid0(VALU_DEP_1) | instskip(NEXT) | instid1(VALU_DEP_1)
	v_lshl_or_b32 v1, v5, 3, v1
	v_and_or_b32 v5, v18, 7, v1
                                        ; implicit-def: $vgpr1
; %bb.40:                               ;   in Loop: Header=BB32_15 Depth=1
	s_and_not1_saveexec_b32 s0, s0
; %bb.41:                               ;   in Loop: Header=BB32_15 Depth=1
	v_mov_b32_e32 v5, v1
; %bb.42:                               ;   in Loop: Header=BB32_15 Depth=1
	s_or_b32 exec_lo, exec_lo, s0
.LBB32_43:                              ;   in Loop: Header=BB32_15 Depth=1
	s_delay_alu instid0(SALU_CYCLE_1)
	s_or_b32 exec_lo, exec_lo, s7
.LBB32_44:                              ;   in Loop: Header=BB32_15 Depth=1
	s_and_not1_saveexec_b32 s0, s6
	s_delay_alu instid0(SALU_CYCLE_1)
	s_or_b32 exec_lo, exec_lo, s0
                                        ; implicit-def: $vgpr24
.LBB32_45:                              ;   in Loop: Header=BB32_15 Depth=1
	s_and_not1_saveexec_b32 s0, s5
; %bb.46:                               ;   in Loop: Header=BB32_15 Depth=1
	v_cmp_eq_u64_e32 vcc_lo, 0, v[10:11]
	v_or_b32_e32 v1, 0x7f, v24
	s_delay_alu instid0(VALU_DEP_1)
	v_cndmask_b32_e32 v5, v1, v5, vcc_lo
; %bb.47:                               ;   in Loop: Header=BB32_15 Depth=1
	s_or_b32 exec_lo, exec_lo, s0
	v_fma_mixlo_f16 v1, v22, v2, 0 op_sel_hi:[0,1,0]
	global_store_b8 v[16:17], v5, off offset:1
	s_mov_b32 s0, exec_lo
	v_mov_b32_e32 v26, v11
	v_mul_f16_e32 v1, v6, v1
	s_delay_alu instid0(VALU_DEP_1) | instskip(NEXT) | instid1(VALU_DEP_1)
	v_cvt_f32_f16_e32 v1, v1
	v_mul_f32_e32 v1, v23, v1
	s_delay_alu instid0(VALU_DEP_1) | instskip(NEXT) | instid1(VALU_DEP_1)
	v_minmax_f32 v18, v1, s4, 0xc3e00000
	v_and_b32_e32 v10, 0x7fffff, v18
	v_lshrrev_b32_e32 v24, 24, v18
	v_and_b32_e32 v25, 0x7f800000, v18
	s_delay_alu instid0(VALU_DEP_2) | instskip(NEXT) | instid1(VALU_DEP_1)
	v_and_b32_e32 v1, 0x80, v24
	v_or_b32_e32 v19, 0x7e, v1
	s_delay_alu instid0(VALU_DEP_3)
	v_cmpx_ne_u64_e32 0x7f800000, v[25:26]
	s_xor_b32 s5, exec_lo, s0
	s_cbranch_execz .LBB32_61
; %bb.48:                               ;   in Loop: Header=BB32_15 Depth=1
	v_dual_mov_b32 v25, v11 :: v_dual_and_b32 v24, 0x7fffffff, v18
	s_mov_b32 s0, exec_lo
	s_delay_alu instid0(VALU_DEP_1)
	v_cmpx_gt_u64_e32 0x43e00001, v[24:25]
	s_xor_b32 s6, exec_lo, s0
	s_cbranch_execz .LBB32_60
; %bb.49:                               ;   in Loop: Header=BB32_15 Depth=1
	v_mov_b32_e32 v19, 0
	s_mov_b32 s7, exec_lo
	v_cmpx_ne_u32_e32 0, v18
	s_cbranch_execz .LBB32_59
; %bb.50:                               ;   in Loop: Header=BB32_15 Depth=1
	v_bfe_u32 v5, v18, 23, 8
	s_delay_alu instid0(VALU_DEP_1) | instskip(SKIP_2) | instid1(VALU_DEP_3)
	v_sub_nc_u32_e64 v18, 0x79, v5 clamp
	v_cmp_eq_u32_e32 vcc_lo, 0, v5
	v_add_nc_u32_e32 v5, 0xffffff88, v5
	v_cndmask_b32_e64 v28, v18, 0x78, vcc_lo
	v_or_b32_e32 v18, 0x800000, v10
	s_delay_alu instid0(VALU_DEP_3) | instskip(NEXT) | instid1(VALU_DEP_2)
	v_cndmask_b32_e64 v5, v5, 0xffffff89, vcc_lo
	v_dual_cndmask_b32 v10, v18, v10 :: v_dual_add_nc_u32 v19, 20, v28
	v_add_nc_u32_e32 v24, 19, v28
	s_delay_alu instid0(VALU_DEP_2) | instskip(NEXT) | instid1(VALU_DEP_3)
	v_lshlrev_b64 v[18:19], v19, -1
	v_lshrrev_b64 v[26:27], v28, v[10:11]
	s_delay_alu instid0(VALU_DEP_2) | instskip(NEXT) | instid1(VALU_DEP_3)
	v_not_b32_e32 v25, v19
	v_not_b32_e32 v29, v18
	v_lshlrev_b64 v[18:19], v24, 1
	s_delay_alu instid0(VALU_DEP_3) | instskip(NEXT) | instid1(VALU_DEP_3)
	v_and_b32_e32 v25, 0, v25
	v_and_b32_e32 v24, v10, v29
	;; [unrolled: 1-line block ×3, first 2 shown]
	s_delay_alu instid0(VALU_DEP_2) | instskip(NEXT) | instid1(VALU_DEP_2)
	v_cmp_eq_u64_e64 s0, v[24:25], v[18:19]
	v_cmp_eq_u64_e64 s1, 0, v[10:11]
	v_lshrrev_b32_e32 v10, 23, v26
	s_delay_alu instid0(VALU_DEP_1) | instskip(NEXT) | instid1(VALU_DEP_3)
	v_add3_u32 v24, v5, v28, v10
	s_and_b32 vcc_lo, s1, s0
	s_mov_b32 s0, exec_lo
	v_subrev_co_ci_u32_e32 v18, vcc_lo, 0, v26, vcc_lo
	s_delay_alu instid0(VALU_DEP_2) | instskip(NEXT) | instid1(VALU_DEP_2)
	v_add_nc_u32_e32 v25, -1, v24
	v_and_b32_e32 v5, 0xfffff, v18
	s_delay_alu instid0(VALU_DEP_1) | instskip(SKIP_1) | instid1(VALU_DEP_4)
	v_add_co_u32 v18, vcc_lo, v5, v26
	v_add_co_ci_u32_e32 v19, vcc_lo, 0, v27, vcc_lo
                                        ; implicit-def: $vgpr5
	v_cmpx_ne_u32_e32 0, v25
	s_xor_b32 s0, exec_lo, s0
; %bb.51:                               ;   in Loop: Header=BB32_15 Depth=1
	s_delay_alu instid0(VALU_DEP_3) | instskip(SKIP_1) | instid1(VALU_DEP_2)
	v_and_b32_e32 v10, 0x1000000, v18
	v_bfe_u32 v5, v18, 24, 1
	v_cmp_eq_u64_e32 vcc_lo, 0, v[10:11]
	s_delay_alu instid0(VALU_DEP_2)
	v_lshrrev_b64 v[18:19], v5, v[18:19]
	v_cndmask_b32_e32 v5, v24, v25, vcc_lo
; %bb.52:                               ;   in Loop: Header=BB32_15 Depth=1
	s_and_not1_saveexec_b32 s0, s0
; %bb.53:                               ;   in Loop: Header=BB32_15 Depth=1
	s_delay_alu instid0(VALU_DEP_2)
	v_bfe_u32 v5, v18, 23, 1
; %bb.54:                               ;   in Loop: Header=BB32_15 Depth=1
	s_or_b32 exec_lo, exec_lo, s0
	s_delay_alu instid0(VALU_DEP_3) | instskip(NEXT) | instid1(VALU_DEP_2)
	v_lshrrev_b64 v[18:19], 20, v[18:19]
	v_cmp_gt_i32_e32 vcc_lo, 16, v5
	v_cmp_ne_u32_e64 s0, 0, v5
	s_delay_alu instid0(VALU_DEP_3) | instskip(NEXT) | instid1(VALU_DEP_1)
	v_dual_cndmask_b32 v19, 0, v19 :: v_dual_cndmask_b32 v18, 7, v18
	v_cmp_ne_u64_e32 vcc_lo, 0, v[18:19]
                                        ; implicit-def: $vgpr19
	s_delay_alu instid0(VALU_DEP_3) | instskip(NEXT) | instid1(SALU_CYCLE_1)
	s_or_b32 s0, s0, vcc_lo
	s_and_saveexec_b32 s1, s0
	s_delay_alu instid0(SALU_CYCLE_1)
	s_xor_b32 s0, exec_lo, s1
; %bb.55:                               ;   in Loop: Header=BB32_15 Depth=1
	v_min_i32_e32 v5, 15, v5
	s_delay_alu instid0(VALU_DEP_1) | instskip(NEXT) | instid1(VALU_DEP_1)
	v_lshl_or_b32 v1, v5, 3, v1
	v_and_or_b32 v19, v18, 7, v1
                                        ; implicit-def: $vgpr1
; %bb.56:                               ;   in Loop: Header=BB32_15 Depth=1
	s_and_not1_saveexec_b32 s0, s0
; %bb.57:                               ;   in Loop: Header=BB32_15 Depth=1
	v_mov_b32_e32 v19, v1
; %bb.58:                               ;   in Loop: Header=BB32_15 Depth=1
	s_or_b32 exec_lo, exec_lo, s0
.LBB32_59:                              ;   in Loop: Header=BB32_15 Depth=1
	s_delay_alu instid0(SALU_CYCLE_1)
	s_or_b32 exec_lo, exec_lo, s7
.LBB32_60:                              ;   in Loop: Header=BB32_15 Depth=1
	s_and_not1_saveexec_b32 s0, s6
	s_delay_alu instid0(SALU_CYCLE_1)
	s_or_b32 exec_lo, exec_lo, s0
                                        ; implicit-def: $vgpr24
.LBB32_61:                              ;   in Loop: Header=BB32_15 Depth=1
	s_and_not1_saveexec_b32 s0, s5
; %bb.62:                               ;   in Loop: Header=BB32_15 Depth=1
	v_cmp_eq_u64_e32 vcc_lo, 0, v[10:11]
	v_or_b32_e32 v1, 0x7f, v24
	s_delay_alu instid0(VALU_DEP_1)
	v_cndmask_b32_e32 v19, v1, v19, vcc_lo
; %bb.63:                               ;   in Loop: Header=BB32_15 Depth=1
	s_or_b32 exec_lo, exec_lo, s0
	v_lshrrev_b32_e32 v1, 16, v6
	v_fma_mixlo_f16 v2, v22, v2, 0 op_sel:[0,1,0] op_sel_hi:[0,1,0]
	global_store_b8 v[16:17], v19, off offset:2
	s_mov_b32 s0, exec_lo
	v_mov_b32_e32 v25, v11
	v_mul_f16_e32 v1, v1, v2
	s_delay_alu instid0(VALU_DEP_1) | instskip(NEXT) | instid1(VALU_DEP_1)
	v_cvt_f32_f16_e32 v1, v1
	v_mul_f32_e32 v1, v23, v1
	s_delay_alu instid0(VALU_DEP_1) | instskip(NEXT) | instid1(VALU_DEP_1)
	v_minmax_f32 v1, v1, s4, 0xc3e00000
	v_lshrrev_b32_e32 v2, 24, v1
	v_and_b32_e32 v24, 0x7f800000, v1
	v_and_b32_e32 v10, 0x7fffff, v1
	s_delay_alu instid0(VALU_DEP_3) | instskip(NEXT) | instid1(VALU_DEP_1)
	v_and_b32_e32 v5, 0x80, v2
	v_or_b32_e32 v6, 0x7e, v5
	s_delay_alu instid0(VALU_DEP_4)
	v_cmpx_ne_u64_e32 0x7f800000, v[24:25]
	s_xor_b32 s5, exec_lo, s0
	s_cbranch_execz .LBB32_77
; %bb.64:                               ;   in Loop: Header=BB32_15 Depth=1
	v_dual_mov_b32 v19, v11 :: v_dual_and_b32 v18, 0x7fffffff, v1
	s_mov_b32 s0, exec_lo
	s_delay_alu instid0(VALU_DEP_1)
	v_cmpx_gt_u64_e32 0x43e00001, v[18:19]
	s_xor_b32 s6, exec_lo, s0
	s_cbranch_execz .LBB32_76
; %bb.65:                               ;   in Loop: Header=BB32_15 Depth=1
	v_mov_b32_e32 v6, 0
	s_mov_b32 s7, exec_lo
	v_cmpx_ne_u32_e32 0, v1
	s_cbranch_execz .LBB32_75
; %bb.66:                               ;   in Loop: Header=BB32_15 Depth=1
	v_bfe_u32 v6, v1, 23, 8
	s_delay_alu instid0(VALU_DEP_1) | instskip(SKIP_2) | instid1(VALU_DEP_3)
	v_sub_nc_u32_e64 v1, 0x79, v6 clamp
	v_cmp_eq_u32_e32 vcc_lo, 0, v6
	v_add_nc_u32_e32 v6, 0xffffff88, v6
	v_cndmask_b32_e64 v26, v1, 0x78, vcc_lo
	v_or_b32_e32 v1, 0x800000, v10
	s_delay_alu instid0(VALU_DEP_2) | instskip(NEXT) | instid1(VALU_DEP_2)
	v_add_nc_u32_e32 v2, 20, v26
	v_cndmask_b32_e32 v10, v1, v10, vcc_lo
	v_add_nc_u32_e32 v18, 19, v26
	s_delay_alu instid0(VALU_DEP_3) | instskip(NEXT) | instid1(VALU_DEP_1)
	v_lshlrev_b64 v[1:2], v2, -1
	v_not_b32_e32 v19, v2
	s_delay_alu instid0(VALU_DEP_2) | instskip(NEXT) | instid1(VALU_DEP_4)
	v_not_b32_e32 v27, v1
	v_lshlrev_b64 v[1:2], v18, 1
	s_delay_alu instid0(VALU_DEP_3) | instskip(SKIP_1) | instid1(VALU_DEP_4)
	v_and_b32_e32 v19, 0, v19
	v_lshrrev_b64 v[24:25], v26, v[10:11]
	v_and_b32_e32 v18, v10, v27
	s_delay_alu instid0(VALU_DEP_1) | instskip(NEXT) | instid1(VALU_DEP_3)
	v_cmp_eq_u64_e64 s0, v[18:19], v[1:2]
	v_and_b32_e32 v10, 0x100000, v24
	v_cndmask_b32_e64 v1, v6, 0xffffff89, vcc_lo
	v_lshrrev_b32_e32 v2, 23, v24
	s_delay_alu instid0(VALU_DEP_3) | instskip(NEXT) | instid1(VALU_DEP_2)
	v_cmp_eq_u64_e64 s1, 0, v[10:11]
	v_add3_u32 v6, v1, v26, v2
	s_delay_alu instid0(VALU_DEP_2) | instskip(NEXT) | instid1(VALU_DEP_1)
	s_and_b32 vcc_lo, s1, s0
	v_add_nc_u32_e32 v18, -1, v6
	v_subrev_co_ci_u32_e32 v10, vcc_lo, 0, v24, vcc_lo
	s_mov_b32 s0, exec_lo
	s_delay_alu instid0(VALU_DEP_1) | instskip(NEXT) | instid1(VALU_DEP_1)
	v_and_b32_e32 v1, 0xfffff, v10
                                        ; implicit-def: $vgpr10
	v_add_co_u32 v1, vcc_lo, v1, v24
	v_add_co_ci_u32_e32 v2, vcc_lo, 0, v25, vcc_lo
	v_cmpx_ne_u32_e32 0, v18
	s_xor_b32 s0, exec_lo, s0
; %bb.67:                               ;   in Loop: Header=BB32_15 Depth=1
	s_delay_alu instid0(VALU_DEP_3) | instskip(SKIP_1) | instid1(VALU_DEP_2)
	v_and_b32_e32 v10, 0x1000000, v1
	v_bfe_u32 v19, v1, 24, 1
	v_cmp_eq_u64_e32 vcc_lo, 0, v[10:11]
	s_delay_alu instid0(VALU_DEP_2)
	v_lshrrev_b64 v[1:2], v19, v[1:2]
	v_cndmask_b32_e32 v10, v6, v18, vcc_lo
; %bb.68:                               ;   in Loop: Header=BB32_15 Depth=1
	s_and_not1_saveexec_b32 s0, s0
; %bb.69:                               ;   in Loop: Header=BB32_15 Depth=1
	s_delay_alu instid0(VALU_DEP_2)
	v_bfe_u32 v10, v1, 23, 1
; %bb.70:                               ;   in Loop: Header=BB32_15 Depth=1
	s_or_b32 exec_lo, exec_lo, s0
	s_delay_alu instid0(VALU_DEP_3) | instskip(NEXT) | instid1(VALU_DEP_2)
	v_lshrrev_b64 v[1:2], 20, v[1:2]
	v_cmp_gt_i32_e32 vcc_lo, 16, v10
	v_cmp_ne_u32_e64 s0, 0, v10
                                        ; implicit-def: $vgpr6
	s_delay_alu instid0(VALU_DEP_3) | instskip(NEXT) | instid1(VALU_DEP_1)
	v_dual_cndmask_b32 v2, 0, v2 :: v_dual_cndmask_b32 v1, 7, v1
	v_cmp_ne_u64_e32 vcc_lo, 0, v[1:2]
	s_delay_alu instid0(VALU_DEP_3) | instskip(NEXT) | instid1(SALU_CYCLE_1)
	s_or_b32 s0, s0, vcc_lo
	s_and_saveexec_b32 s1, s0
	s_delay_alu instid0(SALU_CYCLE_1)
	s_xor_b32 s0, exec_lo, s1
; %bb.71:                               ;   in Loop: Header=BB32_15 Depth=1
	v_min_i32_e32 v2, 15, v10
	s_delay_alu instid0(VALU_DEP_1) | instskip(NEXT) | instid1(VALU_DEP_1)
	v_lshl_or_b32 v2, v2, 3, v5
                                        ; implicit-def: $vgpr5
	v_and_or_b32 v6, v1, 7, v2
; %bb.72:                               ;   in Loop: Header=BB32_15 Depth=1
	s_and_not1_saveexec_b32 s0, s0
; %bb.73:                               ;   in Loop: Header=BB32_15 Depth=1
	v_mov_b32_e32 v6, v5
; %bb.74:                               ;   in Loop: Header=BB32_15 Depth=1
	s_or_b32 exec_lo, exec_lo, s0
.LBB32_75:                              ;   in Loop: Header=BB32_15 Depth=1
	s_delay_alu instid0(SALU_CYCLE_1)
	s_or_b32 exec_lo, exec_lo, s7
.LBB32_76:                              ;   in Loop: Header=BB32_15 Depth=1
	s_and_not1_saveexec_b32 s0, s6
	s_delay_alu instid0(SALU_CYCLE_1)
	s_or_b32 exec_lo, exec_lo, s0
                                        ; implicit-def: $vgpr2
.LBB32_77:                              ;   in Loop: Header=BB32_15 Depth=1
	s_and_not1_saveexec_b32 s0, s5
; %bb.78:                               ;   in Loop: Header=BB32_15 Depth=1
	v_cmp_eq_u64_e32 vcc_lo, 0, v[10:11]
	v_or_b32_e32 v1, 0x7f, v2
	s_delay_alu instid0(VALU_DEP_1)
	v_cndmask_b32_e32 v6, v1, v6, vcc_lo
; %bb.79:                               ;   in Loop: Header=BB32_15 Depth=1
	s_or_b32 exec_lo, exec_lo, s0
	v_fma_mixlo_f16 v1, v22, v3, 0 op_sel_hi:[0,1,0]
	global_store_b8 v[16:17], v6, off offset:3
	s_mov_b32 s0, exec_lo
	v_mov_b32_e32 v25, v11
	v_mul_f16_e32 v1, v7, v1
	s_delay_alu instid0(VALU_DEP_1) | instskip(NEXT) | instid1(VALU_DEP_1)
	v_cvt_f32_f16_e32 v1, v1
	v_mul_f32_e32 v1, v23, v1
	s_delay_alu instid0(VALU_DEP_1) | instskip(NEXT) | instid1(VALU_DEP_1)
	v_minmax_f32 v1, v1, s4, 0xc3e00000
	v_lshrrev_b32_e32 v18, 24, v1
	v_and_b32_e32 v24, 0x7f800000, v1
	v_and_b32_e32 v10, 0x7fffff, v1
	s_delay_alu instid0(VALU_DEP_3) | instskip(NEXT) | instid1(VALU_DEP_1)
	v_and_b32_e32 v5, 0x80, v18
	v_or_b32_e32 v2, 0x7e, v5
	s_delay_alu instid0(VALU_DEP_4)
	v_cmpx_ne_u64_e32 0x7f800000, v[24:25]
	s_xor_b32 s5, exec_lo, s0
	s_cbranch_execz .LBB32_93
; %bb.80:                               ;   in Loop: Header=BB32_15 Depth=1
	v_dual_mov_b32 v19, v11 :: v_dual_and_b32 v18, 0x7fffffff, v1
	s_mov_b32 s0, exec_lo
	s_delay_alu instid0(VALU_DEP_1)
	v_cmpx_gt_u64_e32 0x43e00001, v[18:19]
	s_xor_b32 s6, exec_lo, s0
	s_cbranch_execz .LBB32_92
; %bb.81:                               ;   in Loop: Header=BB32_15 Depth=1
	v_mov_b32_e32 v2, 0
	s_mov_b32 s7, exec_lo
	v_cmpx_ne_u32_e32 0, v1
	s_cbranch_execz .LBB32_91
; %bb.82:                               ;   in Loop: Header=BB32_15 Depth=1
	v_bfe_u32 v6, v1, 23, 8
	s_delay_alu instid0(VALU_DEP_1) | instskip(SKIP_2) | instid1(VALU_DEP_3)
	v_sub_nc_u32_e64 v1, 0x79, v6 clamp
	v_cmp_eq_u32_e32 vcc_lo, 0, v6
	v_add_nc_u32_e32 v6, 0xffffff88, v6
	v_cndmask_b32_e64 v26, v1, 0x78, vcc_lo
	v_or_b32_e32 v1, 0x800000, v10
	s_delay_alu instid0(VALU_DEP_2) | instskip(NEXT) | instid1(VALU_DEP_2)
	v_add_nc_u32_e32 v2, 20, v26
	v_cndmask_b32_e32 v10, v1, v10, vcc_lo
	v_add_nc_u32_e32 v18, 19, v26
	s_delay_alu instid0(VALU_DEP_3) | instskip(NEXT) | instid1(VALU_DEP_1)
	v_lshlrev_b64 v[1:2], v2, -1
	v_not_b32_e32 v19, v2
	s_delay_alu instid0(VALU_DEP_2) | instskip(NEXT) | instid1(VALU_DEP_4)
	v_not_b32_e32 v27, v1
	v_lshlrev_b64 v[1:2], v18, 1
	s_delay_alu instid0(VALU_DEP_3) | instskip(SKIP_1) | instid1(VALU_DEP_4)
	v_and_b32_e32 v19, 0, v19
	v_lshrrev_b64 v[24:25], v26, v[10:11]
	v_and_b32_e32 v18, v10, v27
	s_delay_alu instid0(VALU_DEP_1) | instskip(NEXT) | instid1(VALU_DEP_3)
	v_cmp_eq_u64_e64 s0, v[18:19], v[1:2]
	v_and_b32_e32 v10, 0x100000, v24
	v_cndmask_b32_e64 v1, v6, 0xffffff89, vcc_lo
	v_lshrrev_b32_e32 v2, 23, v24
	s_delay_alu instid0(VALU_DEP_3) | instskip(NEXT) | instid1(VALU_DEP_2)
	v_cmp_eq_u64_e64 s1, 0, v[10:11]
	v_add3_u32 v18, v1, v26, v2
	s_delay_alu instid0(VALU_DEP_2) | instskip(NEXT) | instid1(VALU_DEP_1)
	s_and_b32 vcc_lo, s1, s0
	v_add_nc_u32_e32 v19, -1, v18
	v_subrev_co_ci_u32_e32 v6, vcc_lo, 0, v24, vcc_lo
	s_mov_b32 s0, exec_lo
	s_delay_alu instid0(VALU_DEP_1) | instskip(NEXT) | instid1(VALU_DEP_1)
	v_and_b32_e32 v1, 0xfffff, v6
                                        ; implicit-def: $vgpr6
	v_add_co_u32 v1, vcc_lo, v1, v24
	v_add_co_ci_u32_e32 v2, vcc_lo, 0, v25, vcc_lo
	v_cmpx_ne_u32_e32 0, v19
	s_xor_b32 s0, exec_lo, s0
; %bb.83:                               ;   in Loop: Header=BB32_15 Depth=1
	s_delay_alu instid0(VALU_DEP_3) | instskip(SKIP_1) | instid1(VALU_DEP_2)
	v_and_b32_e32 v10, 0x1000000, v1
	v_bfe_u32 v6, v1, 24, 1
	v_cmp_eq_u64_e32 vcc_lo, 0, v[10:11]
	s_delay_alu instid0(VALU_DEP_2)
	v_lshrrev_b64 v[1:2], v6, v[1:2]
	v_cndmask_b32_e32 v6, v18, v19, vcc_lo
; %bb.84:                               ;   in Loop: Header=BB32_15 Depth=1
	s_and_not1_saveexec_b32 s0, s0
; %bb.85:                               ;   in Loop: Header=BB32_15 Depth=1
	s_delay_alu instid0(VALU_DEP_2)
	v_bfe_u32 v6, v1, 23, 1
; %bb.86:                               ;   in Loop: Header=BB32_15 Depth=1
	s_or_b32 exec_lo, exec_lo, s0
	s_delay_alu instid0(VALU_DEP_3) | instskip(NEXT) | instid1(VALU_DEP_2)
	v_lshrrev_b64 v[1:2], 20, v[1:2]
	v_cmp_gt_i32_e32 vcc_lo, 16, v6
	v_cmp_ne_u32_e64 s0, 0, v6
	s_delay_alu instid0(VALU_DEP_3) | instskip(NEXT) | instid1(VALU_DEP_1)
	v_dual_cndmask_b32 v2, 0, v2 :: v_dual_cndmask_b32 v1, 7, v1
	v_cmp_ne_u64_e32 vcc_lo, 0, v[1:2]
                                        ; implicit-def: $vgpr2
	s_delay_alu instid0(VALU_DEP_3) | instskip(NEXT) | instid1(SALU_CYCLE_1)
	s_or_b32 s0, s0, vcc_lo
	s_and_saveexec_b32 s1, s0
	s_delay_alu instid0(SALU_CYCLE_1)
	s_xor_b32 s0, exec_lo, s1
; %bb.87:                               ;   in Loop: Header=BB32_15 Depth=1
	v_min_i32_e32 v2, 15, v6
	s_delay_alu instid0(VALU_DEP_1) | instskip(NEXT) | instid1(VALU_DEP_1)
	v_lshl_or_b32 v2, v2, 3, v5
                                        ; implicit-def: $vgpr5
	v_and_or_b32 v2, v1, 7, v2
; %bb.88:                               ;   in Loop: Header=BB32_15 Depth=1
	s_and_not1_saveexec_b32 s0, s0
; %bb.89:                               ;   in Loop: Header=BB32_15 Depth=1
	v_mov_b32_e32 v2, v5
; %bb.90:                               ;   in Loop: Header=BB32_15 Depth=1
	s_or_b32 exec_lo, exec_lo, s0
.LBB32_91:                              ;   in Loop: Header=BB32_15 Depth=1
	s_delay_alu instid0(SALU_CYCLE_1)
	s_or_b32 exec_lo, exec_lo, s7
.LBB32_92:                              ;   in Loop: Header=BB32_15 Depth=1
	s_and_not1_saveexec_b32 s0, s6
	s_delay_alu instid0(SALU_CYCLE_1)
	s_or_b32 exec_lo, exec_lo, s0
                                        ; implicit-def: $vgpr18
.LBB32_93:                              ;   in Loop: Header=BB32_15 Depth=1
	s_and_not1_saveexec_b32 s0, s5
; %bb.94:                               ;   in Loop: Header=BB32_15 Depth=1
	v_cmp_eq_u64_e32 vcc_lo, 0, v[10:11]
	v_or_b32_e32 v1, 0x7f, v18
	s_delay_alu instid0(VALU_DEP_1)
	v_cndmask_b32_e32 v2, v1, v2, vcc_lo
; %bb.95:                               ;   in Loop: Header=BB32_15 Depth=1
	s_or_b32 exec_lo, exec_lo, s0
	v_lshrrev_b32_e32 v1, 16, v7
	v_fma_mixlo_f16 v3, v22, v3, 0 op_sel:[0,1,0] op_sel_hi:[0,1,0]
	global_store_b8 v[16:17], v2, off offset:4
	s_mov_b32 s0, exec_lo
	v_mov_b32_e32 v19, v11
	v_mul_f16_e32 v1, v1, v3
	s_delay_alu instid0(VALU_DEP_1) | instskip(NEXT) | instid1(VALU_DEP_1)
	v_cvt_f32_f16_e32 v1, v1
	v_mul_f32_e32 v1, v23, v1
	s_delay_alu instid0(VALU_DEP_1) | instskip(NEXT) | instid1(VALU_DEP_1)
	v_minmax_f32 v1, v1, s4, 0xc3e00000
	v_lshrrev_b32_e32 v6, 24, v1
	v_and_b32_e32 v18, 0x7f800000, v1
	v_and_b32_e32 v10, 0x7fffff, v1
	s_delay_alu instid0(VALU_DEP_3) | instskip(NEXT) | instid1(VALU_DEP_1)
	v_and_b32_e32 v3, 0x80, v6
	v_or_b32_e32 v5, 0x7e, v3
	s_delay_alu instid0(VALU_DEP_4)
	v_cmpx_ne_u64_e32 0x7f800000, v[18:19]
	s_xor_b32 s5, exec_lo, s0
	s_cbranch_execz .LBB32_109
; %bb.96:                               ;   in Loop: Header=BB32_15 Depth=1
	v_dual_mov_b32 v7, v11 :: v_dual_and_b32 v6, 0x7fffffff, v1
	s_mov_b32 s0, exec_lo
	s_delay_alu instid0(VALU_DEP_1)
	v_cmpx_gt_u64_e32 0x43e00001, v[6:7]
	s_xor_b32 s6, exec_lo, s0
	s_cbranch_execz .LBB32_108
; %bb.97:                               ;   in Loop: Header=BB32_15 Depth=1
	v_mov_b32_e32 v5, 0
	s_mov_b32 s7, exec_lo
	v_cmpx_ne_u32_e32 0, v1
	s_cbranch_execz .LBB32_107
; %bb.98:                               ;   in Loop: Header=BB32_15 Depth=1
	v_bfe_u32 v7, v1, 23, 8
	s_delay_alu instid0(VALU_DEP_1) | instskip(SKIP_2) | instid1(VALU_DEP_3)
	v_sub_nc_u32_e64 v1, 0x79, v7 clamp
	v_cmp_eq_u32_e32 vcc_lo, 0, v7
	v_add_nc_u32_e32 v7, 0xffffff88, v7
	v_cndmask_b32_e64 v24, v1, 0x78, vcc_lo
	v_or_b32_e32 v1, 0x800000, v10
	s_delay_alu instid0(VALU_DEP_2) | instskip(NEXT) | instid1(VALU_DEP_2)
	v_add_nc_u32_e32 v2, 20, v24
	v_dual_cndmask_b32 v10, v1, v10 :: v_dual_add_nc_u32 v5, 19, v24
	s_delay_alu instid0(VALU_DEP_2) | instskip(NEXT) | instid1(VALU_DEP_2)
	v_lshlrev_b64 v[1:2], v2, -1
	v_lshrrev_b64 v[18:19], v24, v[10:11]
	s_delay_alu instid0(VALU_DEP_2) | instskip(NEXT) | instid1(VALU_DEP_3)
	v_not_b32_e32 v6, v2
	v_not_b32_e32 v25, v1
	v_lshlrev_b64 v[1:2], v5, 1
	s_delay_alu instid0(VALU_DEP_3) | instskip(NEXT) | instid1(VALU_DEP_3)
	v_and_b32_e32 v6, 0, v6
	v_and_b32_e32 v5, v10, v25
	;; [unrolled: 1-line block ×3, first 2 shown]
	s_delay_alu instid0(VALU_DEP_2) | instskip(NEXT) | instid1(VALU_DEP_2)
	v_cmp_eq_u64_e64 s0, v[5:6], v[1:2]
	v_cmp_eq_u64_e64 s1, 0, v[10:11]
	v_cndmask_b32_e64 v1, v7, 0xffffff89, vcc_lo
	v_lshrrev_b32_e32 v2, 23, v18
	s_delay_alu instid0(VALU_DEP_3) | instskip(NEXT) | instid1(VALU_DEP_1)
	s_and_b32 vcc_lo, s1, s0
	v_add3_u32 v5, v1, v24, v2
	v_subrev_co_ci_u32_e32 v6, vcc_lo, 0, v18, vcc_lo
	s_mov_b32 s0, exec_lo
	s_delay_alu instid0(VALU_DEP_2) | instskip(NEXT) | instid1(VALU_DEP_2)
	v_add_nc_u32_e32 v7, -1, v5
	v_and_b32_e32 v1, 0xfffff, v6
                                        ; implicit-def: $vgpr6
	s_delay_alu instid0(VALU_DEP_1) | instskip(SKIP_1) | instid1(VALU_DEP_4)
	v_add_co_u32 v1, vcc_lo, v1, v18
	v_add_co_ci_u32_e32 v2, vcc_lo, 0, v19, vcc_lo
	v_cmpx_ne_u32_e32 0, v7
	s_xor_b32 s0, exec_lo, s0
; %bb.99:                               ;   in Loop: Header=BB32_15 Depth=1
	s_delay_alu instid0(VALU_DEP_3) | instskip(SKIP_1) | instid1(VALU_DEP_2)
	v_and_b32_e32 v10, 0x1000000, v1
	v_bfe_u32 v6, v1, 24, 1
	v_cmp_eq_u64_e32 vcc_lo, 0, v[10:11]
	s_delay_alu instid0(VALU_DEP_2)
	v_lshrrev_b64 v[1:2], v6, v[1:2]
	v_cndmask_b32_e32 v6, v5, v7, vcc_lo
; %bb.100:                              ;   in Loop: Header=BB32_15 Depth=1
	s_and_not1_saveexec_b32 s0, s0
; %bb.101:                              ;   in Loop: Header=BB32_15 Depth=1
	s_delay_alu instid0(VALU_DEP_2)
	v_bfe_u32 v6, v1, 23, 1
; %bb.102:                              ;   in Loop: Header=BB32_15 Depth=1
	s_or_b32 exec_lo, exec_lo, s0
	s_delay_alu instid0(VALU_DEP_3) | instskip(NEXT) | instid1(VALU_DEP_2)
	v_lshrrev_b64 v[1:2], 20, v[1:2]
	v_cmp_gt_i32_e32 vcc_lo, 16, v6
	v_cmp_ne_u32_e64 s0, 0, v6
                                        ; implicit-def: $vgpr5
	s_delay_alu instid0(VALU_DEP_3) | instskip(NEXT) | instid1(VALU_DEP_1)
	v_dual_cndmask_b32 v2, 0, v2 :: v_dual_cndmask_b32 v1, 7, v1
	v_cmp_ne_u64_e32 vcc_lo, 0, v[1:2]
	s_delay_alu instid0(VALU_DEP_3) | instskip(NEXT) | instid1(SALU_CYCLE_1)
	s_or_b32 s0, s0, vcc_lo
	s_and_saveexec_b32 s1, s0
	s_delay_alu instid0(SALU_CYCLE_1)
	s_xor_b32 s0, exec_lo, s1
; %bb.103:                              ;   in Loop: Header=BB32_15 Depth=1
	v_min_i32_e32 v2, 15, v6
	s_delay_alu instid0(VALU_DEP_1) | instskip(NEXT) | instid1(VALU_DEP_1)
	v_lshl_or_b32 v2, v2, 3, v3
                                        ; implicit-def: $vgpr3
	v_and_or_b32 v5, v1, 7, v2
; %bb.104:                              ;   in Loop: Header=BB32_15 Depth=1
	s_and_not1_saveexec_b32 s0, s0
; %bb.105:                              ;   in Loop: Header=BB32_15 Depth=1
	v_mov_b32_e32 v5, v3
; %bb.106:                              ;   in Loop: Header=BB32_15 Depth=1
	s_or_b32 exec_lo, exec_lo, s0
.LBB32_107:                             ;   in Loop: Header=BB32_15 Depth=1
	s_delay_alu instid0(SALU_CYCLE_1)
	s_or_b32 exec_lo, exec_lo, s7
.LBB32_108:                             ;   in Loop: Header=BB32_15 Depth=1
	s_and_not1_saveexec_b32 s0, s6
	s_delay_alu instid0(SALU_CYCLE_1)
	s_or_b32 exec_lo, exec_lo, s0
                                        ; implicit-def: $vgpr6
.LBB32_109:                             ;   in Loop: Header=BB32_15 Depth=1
	s_and_not1_saveexec_b32 s0, s5
; %bb.110:                              ;   in Loop: Header=BB32_15 Depth=1
	v_cmp_eq_u64_e32 vcc_lo, 0, v[10:11]
	v_or_b32_e32 v1, 0x7f, v6
	s_delay_alu instid0(VALU_DEP_1)
	v_cndmask_b32_e32 v5, v1, v5, vcc_lo
; %bb.111:                              ;   in Loop: Header=BB32_15 Depth=1
	s_or_b32 exec_lo, exec_lo, s0
	v_fma_mixlo_f16 v1, v22, v4, 0 op_sel_hi:[0,1,0]
	global_store_b8 v[16:17], v5, off offset:5
	s_mov_b32 s0, exec_lo
	v_mov_b32_e32 v19, v11
	v_mul_f16_e32 v1, v8, v1
	s_delay_alu instid0(VALU_DEP_1) | instskip(NEXT) | instid1(VALU_DEP_1)
	v_cvt_f32_f16_e32 v1, v1
	v_mul_f32_e32 v1, v23, v1
	s_delay_alu instid0(VALU_DEP_1) | instskip(NEXT) | instid1(VALU_DEP_1)
	v_minmax_f32 v1, v1, s4, 0xc3e00000
	v_lshrrev_b32_e32 v6, 24, v1
	v_and_b32_e32 v18, 0x7f800000, v1
	v_and_b32_e32 v10, 0x7fffff, v1
	s_delay_alu instid0(VALU_DEP_3) | instskip(NEXT) | instid1(VALU_DEP_1)
	v_and_b32_e32 v3, 0x80, v6
	v_or_b32_e32 v2, 0x7e, v3
	s_delay_alu instid0(VALU_DEP_4)
	v_cmpx_ne_u64_e32 0x7f800000, v[18:19]
	s_xor_b32 s5, exec_lo, s0
	s_cbranch_execz .LBB32_125
; %bb.112:                              ;   in Loop: Header=BB32_15 Depth=1
	v_dual_mov_b32 v6, v11 :: v_dual_and_b32 v5, 0x7fffffff, v1
	s_mov_b32 s0, exec_lo
	s_delay_alu instid0(VALU_DEP_1)
	v_cmpx_gt_u64_e32 0x43e00001, v[5:6]
	s_xor_b32 s6, exec_lo, s0
	s_cbranch_execz .LBB32_124
; %bb.113:                              ;   in Loop: Header=BB32_15 Depth=1
	v_mov_b32_e32 v2, 0
	s_mov_b32 s7, exec_lo
	v_cmpx_ne_u32_e32 0, v1
	s_cbranch_execz .LBB32_123
; %bb.114:                              ;   in Loop: Header=BB32_15 Depth=1
	v_bfe_u32 v7, v1, 23, 8
	s_delay_alu instid0(VALU_DEP_1) | instskip(SKIP_2) | instid1(VALU_DEP_3)
	v_sub_nc_u32_e64 v1, 0x79, v7 clamp
	v_cmp_eq_u32_e32 vcc_lo, 0, v7
	v_add_nc_u32_e32 v7, 0xffffff88, v7
	v_cndmask_b32_e64 v24, v1, 0x78, vcc_lo
	v_or_b32_e32 v1, 0x800000, v10
	s_delay_alu instid0(VALU_DEP_2) | instskip(NEXT) | instid1(VALU_DEP_2)
	v_add_nc_u32_e32 v2, 20, v24
	v_dual_cndmask_b32 v10, v1, v10 :: v_dual_add_nc_u32 v5, 19, v24
	s_delay_alu instid0(VALU_DEP_2) | instskip(NEXT) | instid1(VALU_DEP_2)
	v_lshlrev_b64 v[1:2], v2, -1
	v_lshrrev_b64 v[18:19], v24, v[10:11]
	s_delay_alu instid0(VALU_DEP_2) | instskip(NEXT) | instid1(VALU_DEP_3)
	v_not_b32_e32 v6, v2
	v_not_b32_e32 v25, v1
	v_lshlrev_b64 v[1:2], v5, 1
	s_delay_alu instid0(VALU_DEP_3) | instskip(NEXT) | instid1(VALU_DEP_3)
	v_and_b32_e32 v6, 0, v6
	v_and_b32_e32 v5, v10, v25
	;; [unrolled: 1-line block ×3, first 2 shown]
	s_delay_alu instid0(VALU_DEP_2) | instskip(NEXT) | instid1(VALU_DEP_2)
	v_cmp_eq_u64_e64 s0, v[5:6], v[1:2]
	v_cmp_eq_u64_e64 s1, 0, v[10:11]
	v_cndmask_b32_e64 v1, v7, 0xffffff89, vcc_lo
	v_lshrrev_b32_e32 v2, 23, v18
	s_delay_alu instid0(VALU_DEP_3) | instskip(NEXT) | instid1(VALU_DEP_1)
	s_and_b32 vcc_lo, s1, s0
	v_add3_u32 v6, v1, v24, v2
	v_subrev_co_ci_u32_e32 v5, vcc_lo, 0, v18, vcc_lo
	s_mov_b32 s0, exec_lo
	s_delay_alu instid0(VALU_DEP_2) | instskip(NEXT) | instid1(VALU_DEP_2)
	v_add_nc_u32_e32 v7, -1, v6
	v_and_b32_e32 v1, 0xfffff, v5
                                        ; implicit-def: $vgpr5
	s_delay_alu instid0(VALU_DEP_1) | instskip(SKIP_1) | instid1(VALU_DEP_4)
	v_add_co_u32 v1, vcc_lo, v1, v18
	v_add_co_ci_u32_e32 v2, vcc_lo, 0, v19, vcc_lo
	v_cmpx_ne_u32_e32 0, v7
	s_xor_b32 s0, exec_lo, s0
; %bb.115:                              ;   in Loop: Header=BB32_15 Depth=1
	s_delay_alu instid0(VALU_DEP_3) | instskip(SKIP_1) | instid1(VALU_DEP_2)
	v_and_b32_e32 v10, 0x1000000, v1
	v_bfe_u32 v5, v1, 24, 1
	v_cmp_eq_u64_e32 vcc_lo, 0, v[10:11]
	s_delay_alu instid0(VALU_DEP_2)
	v_lshrrev_b64 v[1:2], v5, v[1:2]
	v_cndmask_b32_e32 v5, v6, v7, vcc_lo
; %bb.116:                              ;   in Loop: Header=BB32_15 Depth=1
	s_and_not1_saveexec_b32 s0, s0
; %bb.117:                              ;   in Loop: Header=BB32_15 Depth=1
	s_delay_alu instid0(VALU_DEP_2)
	v_bfe_u32 v5, v1, 23, 1
; %bb.118:                              ;   in Loop: Header=BB32_15 Depth=1
	s_or_b32 exec_lo, exec_lo, s0
	s_delay_alu instid0(VALU_DEP_3) | instskip(NEXT) | instid1(VALU_DEP_2)
	v_lshrrev_b64 v[1:2], 20, v[1:2]
	v_cmp_gt_i32_e32 vcc_lo, 16, v5
	v_cmp_ne_u32_e64 s0, 0, v5
	s_delay_alu instid0(VALU_DEP_3) | instskip(NEXT) | instid1(VALU_DEP_1)
	v_dual_cndmask_b32 v2, 0, v2 :: v_dual_cndmask_b32 v1, 7, v1
	v_cmp_ne_u64_e32 vcc_lo, 0, v[1:2]
                                        ; implicit-def: $vgpr2
	s_delay_alu instid0(VALU_DEP_3) | instskip(NEXT) | instid1(SALU_CYCLE_1)
	s_or_b32 s0, s0, vcc_lo
	s_and_saveexec_b32 s1, s0
	s_delay_alu instid0(SALU_CYCLE_1)
	s_xor_b32 s0, exec_lo, s1
; %bb.119:                              ;   in Loop: Header=BB32_15 Depth=1
	v_min_i32_e32 v2, 15, v5
	s_delay_alu instid0(VALU_DEP_1) | instskip(NEXT) | instid1(VALU_DEP_1)
	v_lshl_or_b32 v2, v2, 3, v3
                                        ; implicit-def: $vgpr3
	v_and_or_b32 v2, v1, 7, v2
; %bb.120:                              ;   in Loop: Header=BB32_15 Depth=1
	s_and_not1_saveexec_b32 s0, s0
; %bb.121:                              ;   in Loop: Header=BB32_15 Depth=1
	v_mov_b32_e32 v2, v3
; %bb.122:                              ;   in Loop: Header=BB32_15 Depth=1
	s_or_b32 exec_lo, exec_lo, s0
.LBB32_123:                             ;   in Loop: Header=BB32_15 Depth=1
	s_delay_alu instid0(SALU_CYCLE_1)
	s_or_b32 exec_lo, exec_lo, s7
.LBB32_124:                             ;   in Loop: Header=BB32_15 Depth=1
	s_and_not1_saveexec_b32 s0, s6
	s_delay_alu instid0(SALU_CYCLE_1)
	s_or_b32 exec_lo, exec_lo, s0
                                        ; implicit-def: $vgpr6
.LBB32_125:                             ;   in Loop: Header=BB32_15 Depth=1
	s_and_not1_saveexec_b32 s0, s5
; %bb.126:                              ;   in Loop: Header=BB32_15 Depth=1
	v_cmp_eq_u64_e32 vcc_lo, 0, v[10:11]
	v_or_b32_e32 v1, 0x7f, v6
	s_delay_alu instid0(VALU_DEP_1)
	v_cndmask_b32_e32 v2, v1, v2, vcc_lo
; %bb.127:                              ;   in Loop: Header=BB32_15 Depth=1
	s_or_b32 exec_lo, exec_lo, s0
	v_lshrrev_b32_e32 v1, 16, v8
	v_fma_mixlo_f16 v3, v22, v4, 0 op_sel:[0,1,0] op_sel_hi:[0,1,0]
	global_store_b8 v[16:17], v2, off offset:6
	s_mov_b32 s0, exec_lo
	v_mov_b32_e32 v7, v11
	v_mul_f16_e32 v1, v1, v3
	s_delay_alu instid0(VALU_DEP_1) | instskip(NEXT) | instid1(VALU_DEP_1)
	v_cvt_f32_f16_e32 v1, v1
	v_mul_f32_e32 v1, v23, v1
	s_delay_alu instid0(VALU_DEP_1) | instskip(NEXT) | instid1(VALU_DEP_1)
	v_minmax_f32 v1, v1, s4, 0xc3e00000
	v_lshrrev_b32_e32 v5, 24, v1
	v_and_b32_e32 v6, 0x7f800000, v1
	v_and_b32_e32 v10, 0x7fffff, v1
	s_delay_alu instid0(VALU_DEP_3) | instskip(NEXT) | instid1(VALU_DEP_1)
	v_and_b32_e32 v3, 0x80, v5
	v_or_b32_e32 v4, 0x7e, v3
	s_delay_alu instid0(VALU_DEP_4)
	v_cmpx_ne_u64_e32 0x7f800000, v[6:7]
	s_xor_b32 s5, exec_lo, s0
	s_cbranch_execz .LBB32_141
; %bb.128:                              ;   in Loop: Header=BB32_15 Depth=1
	v_dual_mov_b32 v6, v11 :: v_dual_and_b32 v5, 0x7fffffff, v1
	s_mov_b32 s0, exec_lo
	s_delay_alu instid0(VALU_DEP_1)
	v_cmpx_gt_u64_e32 0x43e00001, v[5:6]
	s_xor_b32 s6, exec_lo, s0
	s_cbranch_execz .LBB32_140
; %bb.129:                              ;   in Loop: Header=BB32_15 Depth=1
	v_mov_b32_e32 v4, 0
	s_mov_b32 s7, exec_lo
	v_cmpx_ne_u32_e32 0, v1
	s_cbranch_execz .LBB32_139
; %bb.130:                              ;   in Loop: Header=BB32_15 Depth=1
	v_bfe_u32 v6, v1, 23, 8
	s_delay_alu instid0(VALU_DEP_1) | instskip(SKIP_2) | instid1(VALU_DEP_3)
	v_sub_nc_u32_e64 v1, 0x79, v6 clamp
	v_cmp_eq_u32_e32 vcc_lo, 0, v6
	v_add_nc_u32_e32 v6, 0xffffff88, v6
	v_cndmask_b32_e64 v18, v1, 0x78, vcc_lo
	v_or_b32_e32 v1, 0x800000, v10
	s_delay_alu instid0(VALU_DEP_2) | instskip(NEXT) | instid1(VALU_DEP_2)
	v_add_nc_u32_e32 v2, 20, v18
	v_cndmask_b32_e32 v10, v1, v10, vcc_lo
	v_add_nc_u32_e32 v4, 19, v18
	s_delay_alu instid0(VALU_DEP_3) | instskip(NEXT) | instid1(VALU_DEP_1)
	v_lshlrev_b64 v[1:2], v2, -1
	v_not_b32_e32 v5, v2
	s_delay_alu instid0(VALU_DEP_2) | instskip(NEXT) | instid1(VALU_DEP_4)
	v_not_b32_e32 v19, v1
	v_lshlrev_b64 v[1:2], v4, 1
	s_delay_alu instid0(VALU_DEP_3) | instskip(SKIP_1) | instid1(VALU_DEP_4)
	v_and_b32_e32 v5, 0, v5
	v_lshrrev_b64 v[7:8], v18, v[10:11]
	v_and_b32_e32 v4, v10, v19
	s_delay_alu instid0(VALU_DEP_1) | instskip(NEXT) | instid1(VALU_DEP_3)
	v_cmp_eq_u64_e64 s0, v[4:5], v[1:2]
	v_and_b32_e32 v10, 0x100000, v7
	v_cndmask_b32_e64 v1, v6, 0xffffff89, vcc_lo
	v_lshrrev_b32_e32 v2, 23, v7
	s_delay_alu instid0(VALU_DEP_3) | instskip(NEXT) | instid1(VALU_DEP_2)
	v_cmp_eq_u64_e64 s1, 0, v[10:11]
	v_add3_u32 v4, v1, v18, v2
	s_delay_alu instid0(VALU_DEP_2) | instskip(NEXT) | instid1(VALU_DEP_1)
	s_and_b32 vcc_lo, s1, s0
	v_add_nc_u32_e32 v6, -1, v4
	v_subrev_co_ci_u32_e32 v5, vcc_lo, 0, v7, vcc_lo
	s_mov_b32 s0, exec_lo
	s_delay_alu instid0(VALU_DEP_1) | instskip(NEXT) | instid1(VALU_DEP_1)
	v_and_b32_e32 v1, 0xfffff, v5
                                        ; implicit-def: $vgpr5
	v_add_co_u32 v1, vcc_lo, v1, v7
	v_add_co_ci_u32_e32 v2, vcc_lo, 0, v8, vcc_lo
	v_cmpx_ne_u32_e32 0, v6
	s_xor_b32 s0, exec_lo, s0
; %bb.131:                              ;   in Loop: Header=BB32_15 Depth=1
	s_delay_alu instid0(VALU_DEP_3) | instskip(SKIP_1) | instid1(VALU_DEP_2)
	v_and_b32_e32 v10, 0x1000000, v1
	v_bfe_u32 v5, v1, 24, 1
	v_cmp_eq_u64_e32 vcc_lo, 0, v[10:11]
	s_delay_alu instid0(VALU_DEP_2)
	v_lshrrev_b64 v[1:2], v5, v[1:2]
	v_cndmask_b32_e32 v5, v4, v6, vcc_lo
; %bb.132:                              ;   in Loop: Header=BB32_15 Depth=1
	s_and_not1_saveexec_b32 s0, s0
; %bb.133:                              ;   in Loop: Header=BB32_15 Depth=1
	s_delay_alu instid0(VALU_DEP_2)
	v_bfe_u32 v5, v1, 23, 1
; %bb.134:                              ;   in Loop: Header=BB32_15 Depth=1
	s_or_b32 exec_lo, exec_lo, s0
	s_delay_alu instid0(VALU_DEP_3) | instskip(NEXT) | instid1(VALU_DEP_2)
	v_lshrrev_b64 v[1:2], 20, v[1:2]
	v_cmp_gt_i32_e32 vcc_lo, 16, v5
	v_cmp_ne_u32_e64 s0, 0, v5
                                        ; implicit-def: $vgpr4
	s_delay_alu instid0(VALU_DEP_3) | instskip(NEXT) | instid1(VALU_DEP_1)
	v_dual_cndmask_b32 v2, 0, v2 :: v_dual_cndmask_b32 v1, 7, v1
	v_cmp_ne_u64_e32 vcc_lo, 0, v[1:2]
	s_delay_alu instid0(VALU_DEP_3) | instskip(NEXT) | instid1(SALU_CYCLE_1)
	s_or_b32 s0, s0, vcc_lo
	s_and_saveexec_b32 s1, s0
	s_delay_alu instid0(SALU_CYCLE_1)
	s_xor_b32 s0, exec_lo, s1
; %bb.135:                              ;   in Loop: Header=BB32_15 Depth=1
	v_min_i32_e32 v2, 15, v5
	s_delay_alu instid0(VALU_DEP_1) | instskip(NEXT) | instid1(VALU_DEP_1)
	v_lshl_or_b32 v2, v2, 3, v3
                                        ; implicit-def: $vgpr3
	v_and_or_b32 v4, v1, 7, v2
; %bb.136:                              ;   in Loop: Header=BB32_15 Depth=1
	s_and_not1_saveexec_b32 s0, s0
; %bb.137:                              ;   in Loop: Header=BB32_15 Depth=1
	v_mov_b32_e32 v4, v3
; %bb.138:                              ;   in Loop: Header=BB32_15 Depth=1
	s_or_b32 exec_lo, exec_lo, s0
.LBB32_139:                             ;   in Loop: Header=BB32_15 Depth=1
	s_delay_alu instid0(SALU_CYCLE_1)
	s_or_b32 exec_lo, exec_lo, s7
.LBB32_140:                             ;   in Loop: Header=BB32_15 Depth=1
	s_and_not1_saveexec_b32 s0, s6
	s_delay_alu instid0(SALU_CYCLE_1)
	s_or_b32 exec_lo, exec_lo, s0
                                        ; implicit-def: $vgpr5
.LBB32_141:                             ;   in Loop: Header=BB32_15 Depth=1
	s_and_not1_saveexec_b32 s0, s5
	s_cbranch_execz .LBB32_14
; %bb.142:                              ;   in Loop: Header=BB32_15 Depth=1
	v_cmp_eq_u64_e32 vcc_lo, 0, v[10:11]
	v_or_b32_e32 v1, 0x7f, v5
	s_delay_alu instid0(VALU_DEP_1)
	v_cndmask_b32_e32 v4, v1, v4, vcc_lo
	s_branch .LBB32_14
.LBB32_143:
	s_nop 0
	s_sendmsg sendmsg(MSG_DEALLOC_VGPRS)
	s_endpgm
	.section	.rodata,"a",@progbits
	.p2align	6, 0x0
	.amdhsa_kernel _ZN4vllm42fused_add_rms_norm_static_fp8_quant_kernelIN3c104HalfELi8ENS1_13Float8_e4m3fnEEENSt9enable_ifIXaagtT0_Li0Esr12_typeConvertIT_EE6existsEvE4typeEPT1_PS5_iSA_PKS5_PKffii
		.amdhsa_group_segment_fixed_size 132
		.amdhsa_private_segment_fixed_size 0
		.amdhsa_kernarg_size 320
		.amdhsa_user_sgpr_count 15
		.amdhsa_user_sgpr_dispatch_ptr 0
		.amdhsa_user_sgpr_queue_ptr 0
		.amdhsa_user_sgpr_kernarg_segment_ptr 1
		.amdhsa_user_sgpr_dispatch_id 0
		.amdhsa_user_sgpr_private_segment_size 0
		.amdhsa_wavefront_size32 1
		.amdhsa_uses_dynamic_stack 0
		.amdhsa_enable_private_segment 0
		.amdhsa_system_sgpr_workgroup_id_x 1
		.amdhsa_system_sgpr_workgroup_id_y 0
		.amdhsa_system_sgpr_workgroup_id_z 0
		.amdhsa_system_sgpr_workgroup_info 0
		.amdhsa_system_vgpr_workitem_id 0
		.amdhsa_next_free_vgpr 30
		.amdhsa_next_free_sgpr 21
		.amdhsa_reserve_vcc 1
		.amdhsa_float_round_mode_32 0
		.amdhsa_float_round_mode_16_64 0
		.amdhsa_float_denorm_mode_32 3
		.amdhsa_float_denorm_mode_16_64 3
		.amdhsa_dx10_clamp 1
		.amdhsa_ieee_mode 1
		.amdhsa_fp16_overflow 0
		.amdhsa_workgroup_processor_mode 1
		.amdhsa_memory_ordered 1
		.amdhsa_forward_progress 0
		.amdhsa_shared_vgpr_count 0
		.amdhsa_exception_fp_ieee_invalid_op 0
		.amdhsa_exception_fp_denorm_src 0
		.amdhsa_exception_fp_ieee_div_zero 0
		.amdhsa_exception_fp_ieee_overflow 0
		.amdhsa_exception_fp_ieee_underflow 0
		.amdhsa_exception_fp_ieee_inexact 0
		.amdhsa_exception_int_div_zero 0
	.end_amdhsa_kernel
	.section	.text._ZN4vllm42fused_add_rms_norm_static_fp8_quant_kernelIN3c104HalfELi8ENS1_13Float8_e4m3fnEEENSt9enable_ifIXaagtT0_Li0Esr12_typeConvertIT_EE6existsEvE4typeEPT1_PS5_iSA_PKS5_PKffii,"axG",@progbits,_ZN4vllm42fused_add_rms_norm_static_fp8_quant_kernelIN3c104HalfELi8ENS1_13Float8_e4m3fnEEENSt9enable_ifIXaagtT0_Li0Esr12_typeConvertIT_EE6existsEvE4typeEPT1_PS5_iSA_PKS5_PKffii,comdat
.Lfunc_end32:
	.size	_ZN4vllm42fused_add_rms_norm_static_fp8_quant_kernelIN3c104HalfELi8ENS1_13Float8_e4m3fnEEENSt9enable_ifIXaagtT0_Li0Esr12_typeConvertIT_EE6existsEvE4typeEPT1_PS5_iSA_PKS5_PKffii, .Lfunc_end32-_ZN4vllm42fused_add_rms_norm_static_fp8_quant_kernelIN3c104HalfELi8ENS1_13Float8_e4m3fnEEENSt9enable_ifIXaagtT0_Li0Esr12_typeConvertIT_EE6existsEvE4typeEPT1_PS5_iSA_PKS5_PKffii
                                        ; -- End function
	.section	.AMDGPU.csdata,"",@progbits
; Kernel info:
; codeLenInByte = 6468
; NumSgprs: 23
; NumVgprs: 30
; ScratchSize: 0
; MemoryBound: 0
; FloatMode: 240
; IeeeMode: 1
; LDSByteSize: 132 bytes/workgroup (compile time only)
; SGPRBlocks: 2
; VGPRBlocks: 3
; NumSGPRsForWavesPerEU: 23
; NumVGPRsForWavesPerEU: 30
; Occupancy: 16
; WaveLimiterHint : 0
; COMPUTE_PGM_RSRC2:SCRATCH_EN: 0
; COMPUTE_PGM_RSRC2:USER_SGPR: 15
; COMPUTE_PGM_RSRC2:TRAP_HANDLER: 0
; COMPUTE_PGM_RSRC2:TGID_X_EN: 1
; COMPUTE_PGM_RSRC2:TGID_Y_EN: 0
; COMPUTE_PGM_RSRC2:TGID_Z_EN: 0
; COMPUTE_PGM_RSRC2:TIDIG_COMP_CNT: 0
	.section	.text._ZN4vllm42fused_add_rms_norm_static_fp8_quant_kernelIN3c104HalfELi8ENS1_15Float8_e4m3fnuzEEENSt9enable_ifIXaagtT0_Li0Esr12_typeConvertIT_EE6existsEvE4typeEPT1_PS5_iSA_PKS5_PKffii,"axG",@progbits,_ZN4vllm42fused_add_rms_norm_static_fp8_quant_kernelIN3c104HalfELi8ENS1_15Float8_e4m3fnuzEEENSt9enable_ifIXaagtT0_Li0Esr12_typeConvertIT_EE6existsEvE4typeEPT1_PS5_iSA_PKS5_PKffii,comdat
	.protected	_ZN4vllm42fused_add_rms_norm_static_fp8_quant_kernelIN3c104HalfELi8ENS1_15Float8_e4m3fnuzEEENSt9enable_ifIXaagtT0_Li0Esr12_typeConvertIT_EE6existsEvE4typeEPT1_PS5_iSA_PKS5_PKffii ; -- Begin function _ZN4vllm42fused_add_rms_norm_static_fp8_quant_kernelIN3c104HalfELi8ENS1_15Float8_e4m3fnuzEEENSt9enable_ifIXaagtT0_Li0Esr12_typeConvertIT_EE6existsEvE4typeEPT1_PS5_iSA_PKS5_PKffii
	.globl	_ZN4vllm42fused_add_rms_norm_static_fp8_quant_kernelIN3c104HalfELi8ENS1_15Float8_e4m3fnuzEEENSt9enable_ifIXaagtT0_Li0Esr12_typeConvertIT_EE6existsEvE4typeEPT1_PS5_iSA_PKS5_PKffii
	.p2align	8
	.type	_ZN4vllm42fused_add_rms_norm_static_fp8_quant_kernelIN3c104HalfELi8ENS1_15Float8_e4m3fnuzEEENSt9enable_ifIXaagtT0_Li0Esr12_typeConvertIT_EE6existsEvE4typeEPT1_PS5_iSA_PKS5_PKffii,@function
_ZN4vllm42fused_add_rms_norm_static_fp8_quant_kernelIN3c104HalfELi8ENS1_15Float8_e4m3fnuzEEENSt9enable_ifIXaagtT0_Li0Esr12_typeConvertIT_EE6existsEvE4typeEPT1_PS5_iSA_PKS5_PKffii: ; @_ZN4vllm42fused_add_rms_norm_static_fp8_quant_kernelIN3c104HalfELi8ENS1_15Float8_e4m3fnuzEEENSt9enable_ifIXaagtT0_Li0Esr12_typeConvertIT_EE6existsEvE4typeEPT1_PS5_iSA_PKS5_PKffii
; %bb.0:
	s_clause 0x1
	s_load_b32 s16, s[0:1], 0x38
	s_load_b64 s[8:9], s[0:1], 0x18
	s_mov_b32 s4, exec_lo
                                        ; implicit-def: $sgpr13
                                        ; implicit-def: $sgpr12
	s_waitcnt lgkmcnt(0)
	s_ashr_i32 s2, s16, 31
	s_delay_alu instid0(SALU_CYCLE_1) | instskip(NEXT) | instid1(SALU_CYCLE_1)
	s_lshr_b32 s2, s2, 29
	s_add_i32 s2, s16, s2
	s_delay_alu instid0(SALU_CYCLE_1) | instskip(NEXT) | instid1(SALU_CYCLE_1)
	s_ashr_i32 s3, s2, 3
	v_cmp_gt_i32_e64 s2, s3, v0
	v_cmpx_le_i32_e64 s3, v0
	s_xor_b32 s4, exec_lo, s4
	s_cbranch_execz .LBB33_2
; %bb.1:
	s_load_b32 s5, s[0:1], 0x4c
	s_mov_b32 s13, 0
	s_waitcnt lgkmcnt(0)
	s_and_b32 s12, s5, 0xffff
.LBB33_2:
	s_or_saveexec_b32 s17, s4
	s_clause 0x1
	s_load_b64 s[10:11], s[0:1], 0x0
	s_load_b128 s[4:7], s[0:1], 0x20
	v_mov_b32_e32 v1, s13
	v_mov_b32_e32 v9, s12
	s_mul_i32 s14, s3, s15
	s_xor_b32 exec_lo, exec_lo, s17
	s_cbranch_execz .LBB33_6
; %bb.3:
	s_clause 0x2
	s_load_b32 s18, s[0:1], 0x10
	s_load_b32 s19, s[0:1], 0x4c
	s_load_b64 s[12:13], s[0:1], 0x8
	v_dual_mov_b32 v1, 0 :: v_dual_mov_b32 v2, v0
	s_waitcnt lgkmcnt(0)
	s_ashr_i32 s20, s18, 31
	s_delay_alu instid0(SALU_CYCLE_1) | instskip(NEXT) | instid1(SALU_CYCLE_1)
	s_lshr_b32 s20, s20, 29
	s_add_i32 s18, s18, s20
	s_delay_alu instid0(SALU_CYCLE_1)
	s_ashr_i32 s20, s18, 3
	s_and_b32 s18, s19, 0xffff
	s_mul_i32 s19, s20, s15
	s_mov_b32 s15, 0
.LBB33_4:                               ; =>This Inner Loop Header: Depth=1
	v_add_nc_u32_e32 v3, s19, v2
	v_add_nc_u32_e32 v5, s14, v2
	;; [unrolled: 1-line block ×3, first 2 shown]
	s_delay_alu instid0(VALU_DEP_3) | instskip(NEXT) | instid1(VALU_DEP_3)
	v_ashrrev_i32_e32 v4, 31, v3
	v_ashrrev_i32_e32 v6, 31, v5
	s_delay_alu instid0(VALU_DEP_2) | instskip(NEXT) | instid1(VALU_DEP_2)
	v_lshlrev_b64 v[3:4], 4, v[3:4]
	v_lshlrev_b64 v[5:6], 4, v[5:6]
	s_delay_alu instid0(VALU_DEP_2) | instskip(NEXT) | instid1(VALU_DEP_3)
	v_add_co_u32 v3, vcc_lo, s12, v3
	v_add_co_ci_u32_e32 v4, vcc_lo, s13, v4, vcc_lo
	s_delay_alu instid0(VALU_DEP_3) | instskip(NEXT) | instid1(VALU_DEP_4)
	v_add_co_u32 v11, vcc_lo, s8, v5
	v_add_co_ci_u32_e32 v12, vcc_lo, s9, v6, vcc_lo
	global_load_b128 v[3:6], v[3:4], off
	global_load_b128 v[7:10], v[11:12], off
	v_cmp_le_i32_e32 vcc_lo, s3, v2
	s_or_b32 s15, vcc_lo, s15
	s_waitcnt vmcnt(0)
	v_pk_add_f16 v3, v3, v7
	v_pk_add_f16 v4, v4, v8
	v_pk_add_f16 v5, v5, v9
	v_pk_add_f16 v6, v6, v10
	s_delay_alu instid0(VALU_DEP_4) | instskip(NEXT) | instid1(VALU_DEP_4)
	v_lshrrev_b32_e32 v7, 16, v3
	v_lshrrev_b32_e32 v8, 16, v4
	s_delay_alu instid0(VALU_DEP_4) | instskip(NEXT) | instid1(VALU_DEP_4)
	v_lshrrev_b32_e32 v9, 16, v5
	v_lshrrev_b32_e32 v10, 16, v6
	global_store_b128 v[11:12], v[3:6], off
	v_cvt_f32_f16_e32 v7, v7
	v_cvt_f32_f16_e32 v8, v8
	;; [unrolled: 1-line block ×4, first 2 shown]
	s_delay_alu instid0(VALU_DEP_3) | instskip(NEXT) | instid1(VALU_DEP_2)
	v_dual_mul_f32 v7, v7, v7 :: v_dual_mul_f32 v8, v8, v8
	v_dual_mul_f32 v9, v9, v9 :: v_dual_mul_f32 v10, v10, v10
	s_delay_alu instid0(VALU_DEP_2) | instskip(NEXT) | instid1(VALU_DEP_3)
	v_fma_mix_f32 v7, v3, v3, v7 op_sel_hi:[1,1,0]
	v_fma_mix_f32 v8, v4, v4, v8 op_sel_hi:[1,1,0]
	s_delay_alu instid0(VALU_DEP_3) | instskip(NEXT) | instid1(VALU_DEP_2)
	v_fma_mix_f32 v9, v5, v5, v9 op_sel_hi:[1,1,0]
	v_add_f32_e32 v7, v7, v8
	v_fma_mix_f32 v8, v6, v6, v10 op_sel_hi:[1,1,0]
	s_delay_alu instid0(VALU_DEP_2) | instskip(NEXT) | instid1(VALU_DEP_1)
	v_add_f32_e32 v7, v7, v9
	v_add_f32_e32 v7, v7, v8
	s_delay_alu instid0(VALU_DEP_1)
	v_add_f32_e32 v1, v1, v7
	s_and_not1_b32 exec_lo, exec_lo, s15
	s_cbranch_execnz .LBB33_4
; %bb.5:
	s_or_b32 exec_lo, exec_lo, s15
	v_mov_b32_e32 v9, s18
.LBB33_6:
	s_or_b32 exec_lo, exec_lo, s17
	v_mbcnt_lo_u32_b32 v2, -1, 0
	s_mov_b32 s12, exec_lo
	s_delay_alu instid0(VALU_DEP_1) | instskip(SKIP_2) | instid1(VALU_DEP_2)
	v_cmp_ne_u32_e32 vcc_lo, 31, v2
	v_add_co_ci_u32_e32 v3, vcc_lo, 0, v2, vcc_lo
	v_cmp_gt_u32_e32 vcc_lo, 30, v2
	v_lshlrev_b32_e32 v3, 2, v3
	v_cndmask_b32_e64 v6, 0, 1, vcc_lo
	ds_bpermute_b32 v5, v3, v1
	s_waitcnt lgkmcnt(0)
	v_dual_add_f32 v7, v1, v5 :: v_dual_and_b32 v4, 0x3e0, v0
	s_delay_alu instid0(VALU_DEP_1) | instskip(SKIP_1) | instid1(VALU_DEP_1)
	v_sub_nc_u32_e64 v13, v9, v4 clamp
	v_add_nc_u32_e32 v4, 1, v2
	v_cmp_lt_u32_e32 vcc_lo, v4, v13
	s_delay_alu instid0(VALU_DEP_4) | instskip(NEXT) | instid1(VALU_DEP_1)
	v_dual_cndmask_b32 v7, v1, v7 :: v_dual_lshlrev_b32 v6, 1, v6
	v_add_lshl_u32 v5, v6, v2, 2
	v_cmp_gt_u32_e32 vcc_lo, 28, v2
	ds_bpermute_b32 v6, v5, v7
	v_cndmask_b32_e64 v1, 0, 1, vcc_lo
	s_delay_alu instid0(VALU_DEP_1) | instskip(SKIP_1) | instid1(VALU_DEP_1)
	v_lshlrev_b32_e32 v8, 2, v1
	v_add_nc_u32_e32 v1, 2, v2
	v_cmp_lt_u32_e32 vcc_lo, v1, v13
	s_waitcnt lgkmcnt(0)
	v_add_f32_e32 v10, v7, v6
	v_add_lshl_u32 v6, v8, v2, 2
	s_delay_alu instid0(VALU_DEP_2) | instskip(SKIP_2) | instid1(VALU_DEP_1)
	v_cndmask_b32_e32 v10, v7, v10, vcc_lo
	v_cmp_gt_u32_e32 vcc_lo, 24, v2
	v_cndmask_b32_e64 v7, 0, 1, vcc_lo
	v_lshlrev_b32_e32 v11, 3, v7
	ds_bpermute_b32 v8, v6, v10
	s_waitcnt lgkmcnt(0)
	v_dual_add_f32 v12, v10, v8 :: v_dual_add_nc_u32 v7, 4, v2
	v_add_lshl_u32 v8, v11, v2, 2
	s_delay_alu instid0(VALU_DEP_2) | instskip(NEXT) | instid1(VALU_DEP_3)
	v_cmp_lt_u32_e32 vcc_lo, v7, v13
	v_cndmask_b32_e32 v12, v10, v12, vcc_lo
	v_cmp_gt_u32_e32 vcc_lo, 16, v2
	ds_bpermute_b32 v11, v8, v12
	v_cndmask_b32_e64 v10, 0, 1, vcc_lo
	s_delay_alu instid0(VALU_DEP_1) | instskip(SKIP_1) | instid1(VALU_DEP_1)
	v_lshlrev_b32_e32 v14, 4, v10
	v_add_nc_u32_e32 v10, 8, v2
	v_cmp_lt_u32_e32 vcc_lo, v10, v13
	s_waitcnt lgkmcnt(0)
	v_add_f32_e32 v15, v12, v11
	v_add_lshl_u32 v11, v14, v2, 2
	s_delay_alu instid0(VALU_DEP_2)
	v_cndmask_b32_e32 v14, v12, v15, vcc_lo
	v_add_nc_u32_e32 v12, 16, v2
	ds_bpermute_b32 v15, v11, v14
	v_cmp_lt_u32_e32 vcc_lo, v12, v13
	s_waitcnt lgkmcnt(0)
	v_add_f32_e32 v15, v14, v15
	s_delay_alu instid0(VALU_DEP_1)
	v_cndmask_b32_e32 v13, v14, v15, vcc_lo
	v_cmpx_eq_u32_e32 0, v2
	s_cbranch_execz .LBB33_8
; %bb.7:
	v_lshrrev_b32_e32 v14, 3, v0
	s_delay_alu instid0(VALU_DEP_1)
	v_and_b32_e32 v14, 0x7c, v14
	ds_store_b32 v14, v13
.LBB33_8:
	s_or_b32 exec_lo, exec_lo, s12
	s_delay_alu instid0(SALU_CYCLE_1)
	s_mov_b32 s12, exec_lo
	s_waitcnt lgkmcnt(0)
	s_waitcnt_vscnt null, 0x0
	s_barrier
	buffer_gl0_inv
	v_cmpx_gt_u32_e32 32, v0
	s_cbranch_execz .LBB33_10
; %bb.9:
	v_lshlrev_b32_e32 v2, 2, v2
	ds_load_b32 v2, v2
	s_waitcnt lgkmcnt(0)
	ds_bpermute_b32 v3, v3, v2
	s_waitcnt lgkmcnt(0)
	v_add_f32_e32 v3, v2, v3
	v_add_nc_u32_e32 v13, 31, v9
	s_delay_alu instid0(VALU_DEP_1) | instskip(NEXT) | instid1(VALU_DEP_1)
	v_lshrrev_b32_e32 v13, 5, v13
	v_cmp_lt_u32_e32 vcc_lo, v4, v13
	s_delay_alu instid0(VALU_DEP_4) | instskip(SKIP_4) | instid1(VALU_DEP_1)
	v_cndmask_b32_e32 v2, v2, v3, vcc_lo
	v_cmp_lt_u32_e32 vcc_lo, v1, v13
	ds_bpermute_b32 v3, v5, v2
	s_waitcnt lgkmcnt(0)
	v_add_f32_e32 v3, v2, v3
	v_cndmask_b32_e32 v1, v2, v3, vcc_lo
	v_cmp_lt_u32_e32 vcc_lo, v7, v13
	ds_bpermute_b32 v2, v6, v1
	s_waitcnt lgkmcnt(0)
	v_add_f32_e32 v2, v1, v2
	s_delay_alu instid0(VALU_DEP_1) | instskip(SKIP_4) | instid1(VALU_DEP_1)
	v_cndmask_b32_e32 v1, v1, v2, vcc_lo
	v_cmp_lt_u32_e32 vcc_lo, v10, v13
	ds_bpermute_b32 v2, v8, v1
	s_waitcnt lgkmcnt(0)
	v_add_f32_e32 v2, v1, v2
	v_cndmask_b32_e32 v1, v1, v2, vcc_lo
	v_cmp_lt_u32_e32 vcc_lo, v12, v13
	ds_bpermute_b32 v2, v11, v1
	s_waitcnt lgkmcnt(0)
	v_add_f32_e32 v2, v1, v2
	s_delay_alu instid0(VALU_DEP_1)
	v_cndmask_b32_e32 v13, v1, v2, vcc_lo
.LBB33_10:
	s_or_b32 exec_lo, exec_lo, s12
	s_delay_alu instid0(SALU_CYCLE_1)
	s_mov_b32 s12, exec_lo
	v_cmpx_eq_u32_e32 0, v0
	s_cbranch_execz .LBB33_12
; %bb.11:
	v_cvt_f32_i32_e32 v1, s16
	s_load_b32 s0, s[0:1], 0x30
	s_delay_alu instid0(VALU_DEP_1) | instskip(SKIP_1) | instid1(VALU_DEP_2)
	v_div_scale_f32 v2, null, v1, v1, v13
	v_div_scale_f32 v5, vcc_lo, v13, v1, v13
	v_rcp_f32_e32 v3, v2
	s_waitcnt_depctr 0xfff
	v_fma_f32 v4, -v2, v3, 1.0
	s_delay_alu instid0(VALU_DEP_1) | instskip(NEXT) | instid1(VALU_DEP_1)
	v_fmac_f32_e32 v3, v4, v3
	v_mul_f32_e32 v4, v5, v3
	s_delay_alu instid0(VALU_DEP_1) | instskip(NEXT) | instid1(VALU_DEP_1)
	v_fma_f32 v6, -v2, v4, v5
	v_fmac_f32_e32 v4, v6, v3
	s_delay_alu instid0(VALU_DEP_1) | instskip(NEXT) | instid1(VALU_DEP_1)
	v_fma_f32 v2, -v2, v4, v5
	v_div_fmas_f32 v2, v2, v3, v4
	s_delay_alu instid0(VALU_DEP_1) | instskip(SKIP_1) | instid1(VALU_DEP_1)
	v_div_fixup_f32 v1, v2, v1, v13
	s_waitcnt lgkmcnt(0)
	v_add_f32_e32 v1, s0, v1
	s_delay_alu instid0(VALU_DEP_1) | instskip(SKIP_1) | instid1(VALU_DEP_2)
	v_mul_f32_e32 v2, 0x4b800000, v1
	v_cmp_gt_f32_e32 vcc_lo, 0x800000, v1
	v_cndmask_b32_e32 v1, v1, v2, vcc_lo
	s_delay_alu instid0(VALU_DEP_1) | instskip(SKIP_2) | instid1(VALU_DEP_1)
	v_rsq_f32_e32 v1, v1
	s_waitcnt_depctr 0xfff
	v_mul_f32_e32 v2, 0x45800000, v1
	v_dual_cndmask_b32 v1, v1, v2 :: v_dual_mov_b32 v2, 0
	ds_store_b32 v2, v1 offset:128
.LBB33_12:
	s_or_b32 exec_lo, exec_lo, s12
	s_waitcnt lgkmcnt(0)
	s_barrier
	buffer_gl0_inv
	s_and_saveexec_b32 s0, s2
	s_cbranch_execz .LBB33_95
; %bb.13:
	s_load_b32 s0, s[6:7], 0x0
	v_add_lshl_u32 v20, v0, s14, 3
	v_lshlrev_b32_e32 v21, 3, v9
	s_mov_b32 s2, 0
	v_mov_b32_e32 v11, 0
	ds_load_b32 v22, v11 offset:128
	v_mov_b32_e32 v10, v11
	s_delay_alu instid0(VALU_DEP_1) | instskip(SKIP_3) | instid1(VALU_DEP_2)
	v_lshlrev_b64 v[12:13], 4, v[9:10]
	s_waitcnt lgkmcnt(0)
	v_div_scale_f32 v1, null, s0, s0, 1.0
	v_div_scale_f32 v4, vcc_lo, 1.0, s0, 1.0
	v_rcp_f32_e32 v2, v1
	s_waitcnt_depctr 0xfff
	v_fma_f32 v3, -v1, v2, 1.0
	s_delay_alu instid0(VALU_DEP_1) | instskip(NEXT) | instid1(VALU_DEP_1)
	v_fmac_f32_e32 v2, v3, v2
	v_mul_f32_e32 v3, v4, v2
	s_delay_alu instid0(VALU_DEP_1) | instskip(NEXT) | instid1(VALU_DEP_1)
	v_fma_f32 v5, -v1, v3, v4
	v_fmac_f32_e32 v3, v5, v2
	s_delay_alu instid0(VALU_DEP_1) | instskip(SKIP_1) | instid1(VALU_DEP_2)
	v_fma_f32 v1, -v1, v3, v4
	v_lshlrev_b32_e32 v4, 4, v0
	v_div_fmas_f32 v1, v1, v2, v3
	s_delay_alu instid0(VALU_DEP_2) | instskip(NEXT) | instid1(VALU_DEP_1)
	v_add_co_u32 v2, s1, v4, s4
	v_add_co_ci_u32_e64 v3, null, 0, s5, s1
	s_delay_alu instid0(VALU_DEP_3) | instskip(NEXT) | instid1(VALU_DEP_3)
	v_div_fixup_f32 v23, v1, s0, 1.0
	v_add_co_u32 v14, vcc_lo, v2, 14
	s_delay_alu instid0(VALU_DEP_3)
	v_add_co_ci_u32_e32 v15, vcc_lo, 0, v3, vcc_lo
	s_mov_b32 s4, 0x43600000
	s_branch .LBB33_18
.LBB33_14:                              ;   in Loop: Header=BB33_18 Depth=1
	s_or_b32 exec_lo, exec_lo, s0
	s_delay_alu instid0(VALU_DEP_2) | instskip(NEXT) | instid1(VALU_DEP_2)
	v_lshrrev_b64 v[1:2], 20, v[1:2]
	v_cmp_gt_i32_e32 vcc_lo, 16, v4
	v_and_b32_e32 v3, 0x80, v3
	v_min_i32_e32 v5, 15, v4
	v_cmp_eq_u32_e64 s0, 0, v4
	v_dual_cndmask_b32 v2, 0, v2 :: v_dual_cndmask_b32 v1, 7, v1
	s_delay_alu instid0(VALU_DEP_3) | instskip(NEXT) | instid1(VALU_DEP_2)
	v_lshl_or_b32 v3, v5, 3, v3
	v_cmp_eq_u64_e32 vcc_lo, 0, v[1:2]
	s_delay_alu instid0(VALU_DEP_2)
	v_and_or_b32 v1, v1, 7, v3
	s_and_b32 s0, s0, vcc_lo
	s_delay_alu instid0(VALU_DEP_1) | instid1(SALU_CYCLE_1)
	v_cndmask_b32_e64 v2, v1, 0, s0
.LBB33_15:                              ;   in Loop: Header=BB33_18 Depth=1
	s_or_b32 exec_lo, exec_lo, s7
.LBB33_16:                              ;   in Loop: Header=BB33_18 Depth=1
	s_and_not1_saveexec_b32 s0, s6
	s_delay_alu instid0(SALU_CYCLE_1)
	s_or_b32 exec_lo, exec_lo, s0
.LBB33_17:                              ;   in Loop: Header=BB33_18 Depth=1
	s_and_not1_saveexec_b32 s0, s5
	s_delay_alu instid0(SALU_CYCLE_1) | instskip(SKIP_4) | instid1(VALU_DEP_4)
	s_or_b32 exec_lo, exec_lo, s0
	v_add_nc_u32_e32 v0, v0, v9
	v_add_co_u32 v14, s0, v14, v12
	v_add_nc_u32_e32 v20, v20, v21
	v_add_co_ci_u32_e64 v15, s0, v15, v13, s0
	v_cmp_le_i32_e32 vcc_lo, s3, v0
	global_store_b8 v[16:17], v2, off offset:7
	s_or_b32 s2, vcc_lo, s2
	s_delay_alu instid0(SALU_CYCLE_1)
	s_and_not1_b32 exec_lo, exec_lo, s2
	s_cbranch_execz .LBB33_95
.LBB33_18:                              ; =>This Inner Loop Header: Depth=1
	v_add_nc_u32_e32 v1, s14, v0
	s_mov_b32 s0, exec_lo
	s_delay_alu instid0(VALU_DEP_1) | instskip(NEXT) | instid1(VALU_DEP_1)
	v_ashrrev_i32_e32 v2, 31, v1
	v_lshlrev_b64 v[1:2], 4, v[1:2]
	s_delay_alu instid0(VALU_DEP_1) | instskip(NEXT) | instid1(VALU_DEP_2)
	v_add_co_u32 v1, vcc_lo, s8, v1
	v_add_co_ci_u32_e32 v2, vcc_lo, s9, v2, vcc_lo
	global_load_b128 v[1:4], v[1:2], off
	global_load_b128 v[5:8], v[14:15], off offset:-14
	s_waitcnt vmcnt(1)
	v_fma_mixlo_f16 v10, v22, v1, 0 op_sel_hi:[0,1,0]
	s_waitcnt vmcnt(0)
	s_delay_alu instid0(VALU_DEP_1) | instskip(NEXT) | instid1(VALU_DEP_1)
	v_mul_f16_e32 v10, v5, v10
	v_cvt_f32_f16_e32 v10, v10
	s_delay_alu instid0(VALU_DEP_1) | instskip(NEXT) | instid1(VALU_DEP_1)
	v_mul_f32_e32 v10, v23, v10
	v_minmax_f32 v16, v10, s4, 0xc3600000
	s_delay_alu instid0(VALU_DEP_1) | instskip(SKIP_1) | instid1(VALU_DEP_2)
	v_lshrrev_b32_e32 v18, 24, v16
	v_and_b32_e32 v10, 0x7f800000, v16
	v_or_b32_e32 v19, 0x7f, v18
	s_delay_alu instid0(VALU_DEP_2)
	v_cmpx_ne_u64_e32 0x7f800000, v[10:11]
	s_xor_b32 s5, exec_lo, s0
	s_cbranch_execz .LBB33_28
; %bb.19:                               ;   in Loop: Header=BB33_18 Depth=1
	v_and_b32_e32 v10, 0x7fffffff, v16
	s_mov_b32 s0, exec_lo
	s_delay_alu instid0(VALU_DEP_1)
	v_cmpx_gt_u64_e32 0x43700001, v[10:11]
	s_xor_b32 s6, exec_lo, s0
	s_cbranch_execz .LBB33_27
; %bb.20:                               ;   in Loop: Header=BB33_18 Depth=1
	v_mov_b32_e32 v19, 0
	s_mov_b32 s7, exec_lo
	v_cmpx_ne_u32_e32 0, v16
	s_cbranch_execz .LBB33_26
; %bb.21:                               ;   in Loop: Header=BB33_18 Depth=1
	v_bfe_u32 v19, v16, 23, 8
	v_and_b32_e32 v16, 0x7fffff, v16
	s_delay_alu instid0(VALU_DEP_2) | instskip(SKIP_2) | instid1(VALU_DEP_3)
	v_sub_nc_u32_e64 v10, 0x78, v19 clamp
	v_cmp_eq_u32_e32 vcc_lo, 0, v19
	v_add_nc_u32_e32 v19, 0xffffff89, v19
	v_cndmask_b32_e64 v24, v10, 0x77, vcc_lo
	v_or_b32_e32 v10, 0x800000, v16
	s_delay_alu instid0(VALU_DEP_2) | instskip(NEXT) | instid1(VALU_DEP_2)
	v_add_nc_u32_e32 v17, 20, v24
	v_cndmask_b32_e32 v10, v10, v16, vcc_lo
	v_add_nc_u32_e32 v27, 19, v24
	s_delay_alu instid0(VALU_DEP_3) | instskip(NEXT) | instid1(VALU_DEP_3)
	v_lshlrev_b64 v[16:17], v17, -1
	v_lshrrev_b64 v[25:26], v24, v[10:11]
	s_delay_alu instid0(VALU_DEP_3) | instskip(SKIP_1) | instid1(VALU_DEP_4)
	v_lshlrev_b64 v[27:28], v27, 1
	v_mov_b32_e32 v17, v11
	v_not_b32_e32 v16, v16
	s_delay_alu instid0(VALU_DEP_1) | instskip(SKIP_1) | instid1(VALU_DEP_2)
	v_and_b32_e32 v16, v10, v16
	v_and_b32_e32 v10, 0x100000, v25
	v_cmp_eq_u64_e64 s0, v[16:17], v[27:28]
	s_delay_alu instid0(VALU_DEP_2) | instskip(SKIP_2) | instid1(VALU_DEP_3)
	v_cmp_eq_u64_e64 s1, 0, v[10:11]
	v_cndmask_b32_e64 v10, v19, 0xffffff8a, vcc_lo
	v_lshrrev_b32_e32 v16, 23, v25
	s_and_b32 vcc_lo, s1, s0
	s_delay_alu instid0(VALU_DEP_1) | instskip(SKIP_2) | instid1(VALU_DEP_2)
	v_add3_u32 v19, v10, v24, v16
	v_subrev_co_ci_u32_e32 v17, vcc_lo, 0, v25, vcc_lo
	s_mov_b32 s0, exec_lo
	v_add_nc_u32_e32 v24, -1, v19
	s_delay_alu instid0(VALU_DEP_2) | instskip(NEXT) | instid1(VALU_DEP_1)
	v_and_b32_e32 v10, 0xfffff, v17
	v_add_co_u32 v16, vcc_lo, v10, v25
	v_add_co_ci_u32_e32 v17, vcc_lo, 0, v26, vcc_lo
                                        ; implicit-def: $vgpr10
	s_delay_alu instid0(VALU_DEP_4)
	v_cmpx_ne_u32_e32 0, v24
	s_xor_b32 s0, exec_lo, s0
; %bb.22:                               ;   in Loop: Header=BB33_18 Depth=1
	s_delay_alu instid0(VALU_DEP_3) | instskip(SKIP_1) | instid1(VALU_DEP_2)
	v_and_b32_e32 v10, 0x1000000, v16
	v_bfe_u32 v25, v16, 24, 1
	v_cmp_eq_u64_e32 vcc_lo, 0, v[10:11]
	s_delay_alu instid0(VALU_DEP_2)
	v_lshrrev_b64 v[16:17], v25, v[16:17]
	v_cndmask_b32_e32 v10, v19, v24, vcc_lo
; %bb.23:                               ;   in Loop: Header=BB33_18 Depth=1
	s_and_not1_saveexec_b32 s0, s0
; %bb.24:                               ;   in Loop: Header=BB33_18 Depth=1
	s_delay_alu instid0(VALU_DEP_2)
	v_bfe_u32 v10, v16, 23, 1
; %bb.25:                               ;   in Loop: Header=BB33_18 Depth=1
	s_or_b32 exec_lo, exec_lo, s0
	s_delay_alu instid0(VALU_DEP_3) | instskip(NEXT) | instid1(VALU_DEP_2)
	v_lshrrev_b64 v[16:17], 20, v[16:17]
	v_cmp_gt_i32_e32 vcc_lo, 16, v10
	v_and_b32_e32 v18, 0x80, v18
	v_min_i32_e32 v19, 15, v10
	v_cmp_eq_u32_e64 s0, 0, v10
	v_dual_cndmask_b32 v17, 0, v17 :: v_dual_cndmask_b32 v16, 7, v16
	s_delay_alu instid0(VALU_DEP_3) | instskip(NEXT) | instid1(VALU_DEP_2)
	v_lshl_or_b32 v18, v19, 3, v18
	v_cmp_eq_u64_e32 vcc_lo, 0, v[16:17]
	s_delay_alu instid0(VALU_DEP_2)
	v_and_or_b32 v10, v16, 7, v18
	s_and_b32 s0, s0, vcc_lo
	s_delay_alu instid0(VALU_DEP_1) | instid1(SALU_CYCLE_1)
	v_cndmask_b32_e64 v19, v10, 0, s0
.LBB33_26:                              ;   in Loop: Header=BB33_18 Depth=1
	s_or_b32 exec_lo, exec_lo, s7
.LBB33_27:                              ;   in Loop: Header=BB33_18 Depth=1
	s_and_not1_saveexec_b32 s0, s6
	s_delay_alu instid0(SALU_CYCLE_1)
	s_or_b32 exec_lo, exec_lo, s0
.LBB33_28:                              ;   in Loop: Header=BB33_18 Depth=1
	s_and_not1_saveexec_b32 s0, s5
	s_delay_alu instid0(SALU_CYCLE_1) | instskip(SKIP_4) | instid1(VALU_DEP_2)
	s_or_b32 exec_lo, exec_lo, s0
	v_lshrrev_b32_e32 v5, 16, v5
	v_fma_mixlo_f16 v1, v22, v1, 0 op_sel:[0,1,0] op_sel_hi:[0,1,0]
	v_add_co_u32 v16, vcc_lo, s10, v20
	s_mov_b32 s0, exec_lo
	v_mul_f16_e32 v1, v5, v1
	v_ashrrev_i32_e32 v5, 31, v20
	s_delay_alu instid0(VALU_DEP_2) | instskip(NEXT) | instid1(VALU_DEP_2)
	v_cvt_f32_f16_e32 v1, v1
	v_add_co_ci_u32_e32 v17, vcc_lo, s11, v5, vcc_lo
	s_delay_alu instid0(VALU_DEP_2) | instskip(SKIP_2) | instid1(VALU_DEP_1)
	v_mul_f32_e32 v1, v23, v1
	global_store_b8 v[16:17], v19, off
	v_minmax_f32 v18, v1, s4, 0xc3600000
	v_and_b32_e32 v10, 0x7f800000, v18
	v_lshrrev_b32_e32 v1, 24, v18
	s_delay_alu instid0(VALU_DEP_1) | instskip(NEXT) | instid1(VALU_DEP_3)
	v_or_b32_e32 v5, 0x7f, v1
	v_cmpx_ne_u64_e32 0x7f800000, v[10:11]
	s_xor_b32 s5, exec_lo, s0
	s_cbranch_execz .LBB33_38
; %bb.29:                               ;   in Loop: Header=BB33_18 Depth=1
	v_and_b32_e32 v10, 0x7fffffff, v18
	s_mov_b32 s0, exec_lo
	s_delay_alu instid0(VALU_DEP_1)
	v_cmpx_gt_u64_e32 0x43700001, v[10:11]
	s_xor_b32 s6, exec_lo, s0
	s_cbranch_execz .LBB33_37
; %bb.30:                               ;   in Loop: Header=BB33_18 Depth=1
	v_mov_b32_e32 v5, 0
	s_mov_b32 s7, exec_lo
	v_cmpx_ne_u32_e32 0, v18
	s_cbranch_execz .LBB33_36
; %bb.31:                               ;   in Loop: Header=BB33_18 Depth=1
	v_bfe_u32 v5, v18, 23, 8
	v_and_b32_e32 v18, 0x7fffff, v18
	s_delay_alu instid0(VALU_DEP_2) | instskip(SKIP_2) | instid1(VALU_DEP_3)
	v_sub_nc_u32_e64 v10, 0x78, v5 clamp
	v_cmp_eq_u32_e32 vcc_lo, 0, v5
	v_add_nc_u32_e32 v5, 0xffffff89, v5
	v_cndmask_b32_e64 v28, v10, 0x77, vcc_lo
	v_or_b32_e32 v10, 0x800000, v18
	s_delay_alu instid0(VALU_DEP_3) | instskip(NEXT) | instid1(VALU_DEP_2)
	v_cndmask_b32_e64 v5, v5, 0xffffff8a, vcc_lo
	v_dual_cndmask_b32 v10, v10, v18 :: v_dual_add_nc_u32 v19, 20, v28
	v_add_nc_u32_e32 v24, 19, v28
	s_delay_alu instid0(VALU_DEP_2) | instskip(NEXT) | instid1(VALU_DEP_3)
	v_lshlrev_b64 v[18:19], v19, -1
	v_lshrrev_b64 v[26:27], v28, v[10:11]
	s_delay_alu instid0(VALU_DEP_3) | instskip(SKIP_1) | instid1(VALU_DEP_4)
	v_lshlrev_b64 v[24:25], v24, 1
	v_mov_b32_e32 v19, v11
	v_not_b32_e32 v18, v18
	s_delay_alu instid0(VALU_DEP_1) | instskip(SKIP_1) | instid1(VALU_DEP_2)
	v_and_b32_e32 v18, v10, v18
	v_and_b32_e32 v10, 0x100000, v26
	v_cmp_eq_u64_e64 s0, v[18:19], v[24:25]
	s_delay_alu instid0(VALU_DEP_2) | instskip(SKIP_1) | instid1(VALU_DEP_1)
	v_cmp_eq_u64_e64 s1, 0, v[10:11]
	v_lshrrev_b32_e32 v10, 23, v26
	v_add3_u32 v24, v5, v28, v10
	s_delay_alu instid0(VALU_DEP_3) | instskip(SKIP_2) | instid1(VALU_DEP_2)
	s_and_b32 vcc_lo, s1, s0
	s_mov_b32 s0, exec_lo
	v_subrev_co_ci_u32_e32 v18, vcc_lo, 0, v26, vcc_lo
	v_add_nc_u32_e32 v25, -1, v24
	s_delay_alu instid0(VALU_DEP_2) | instskip(NEXT) | instid1(VALU_DEP_1)
	v_and_b32_e32 v5, 0xfffff, v18
	v_add_co_u32 v18, vcc_lo, v5, v26
	v_add_co_ci_u32_e32 v19, vcc_lo, 0, v27, vcc_lo
                                        ; implicit-def: $vgpr5
	s_delay_alu instid0(VALU_DEP_4)
	v_cmpx_ne_u32_e32 0, v25
	s_xor_b32 s0, exec_lo, s0
; %bb.32:                               ;   in Loop: Header=BB33_18 Depth=1
	s_delay_alu instid0(VALU_DEP_3) | instskip(SKIP_1) | instid1(VALU_DEP_2)
	v_and_b32_e32 v10, 0x1000000, v18
	v_bfe_u32 v5, v18, 24, 1
	v_cmp_eq_u64_e32 vcc_lo, 0, v[10:11]
	s_delay_alu instid0(VALU_DEP_2)
	v_lshrrev_b64 v[18:19], v5, v[18:19]
	v_cndmask_b32_e32 v5, v24, v25, vcc_lo
; %bb.33:                               ;   in Loop: Header=BB33_18 Depth=1
	s_and_not1_saveexec_b32 s0, s0
; %bb.34:                               ;   in Loop: Header=BB33_18 Depth=1
	s_delay_alu instid0(VALU_DEP_2)
	v_bfe_u32 v5, v18, 23, 1
; %bb.35:                               ;   in Loop: Header=BB33_18 Depth=1
	s_or_b32 exec_lo, exec_lo, s0
	s_delay_alu instid0(VALU_DEP_3) | instskip(NEXT) | instid1(VALU_DEP_2)
	v_lshrrev_b64 v[18:19], 20, v[18:19]
	v_cmp_gt_i32_e32 vcc_lo, 16, v5
	v_and_b32_e32 v1, 0x80, v1
	v_min_i32_e32 v10, 15, v5
	v_cmp_eq_u32_e64 s0, 0, v5
	v_dual_cndmask_b32 v18, 7, v18 :: v_dual_cndmask_b32 v19, 0, v19
	s_delay_alu instid0(VALU_DEP_3) | instskip(NEXT) | instid1(VALU_DEP_2)
	v_lshl_or_b32 v1, v10, 3, v1
	v_cmp_eq_u64_e32 vcc_lo, 0, v[18:19]
	s_delay_alu instid0(VALU_DEP_2)
	v_and_or_b32 v1, v18, 7, v1
	s_and_b32 s0, s0, vcc_lo
	s_delay_alu instid0(VALU_DEP_1) | instid1(SALU_CYCLE_1)
	v_cndmask_b32_e64 v5, v1, 0, s0
.LBB33_36:                              ;   in Loop: Header=BB33_18 Depth=1
	s_or_b32 exec_lo, exec_lo, s7
.LBB33_37:                              ;   in Loop: Header=BB33_18 Depth=1
	s_and_not1_saveexec_b32 s0, s6
	s_delay_alu instid0(SALU_CYCLE_1)
	s_or_b32 exec_lo, exec_lo, s0
.LBB33_38:                              ;   in Loop: Header=BB33_18 Depth=1
	s_and_not1_saveexec_b32 s0, s5
	s_delay_alu instid0(SALU_CYCLE_1) | instskip(SKIP_4) | instid1(VALU_DEP_1)
	s_or_b32 exec_lo, exec_lo, s0
	v_fma_mixlo_f16 v1, v22, v2, 0 op_sel_hi:[0,1,0]
	global_store_b8 v[16:17], v5, off offset:1
	s_mov_b32 s0, exec_lo
	v_mul_f16_e32 v1, v6, v1
	v_cvt_f32_f16_e32 v1, v1
	s_delay_alu instid0(VALU_DEP_1) | instskip(NEXT) | instid1(VALU_DEP_1)
	v_mul_f32_e32 v1, v23, v1
	v_minmax_f32 v19, v1, s4, 0xc3600000
	s_delay_alu instid0(VALU_DEP_1) | instskip(SKIP_1) | instid1(VALU_DEP_1)
	v_and_b32_e32 v10, 0x7f800000, v19
	v_lshrrev_b32_e32 v1, 24, v19
	v_or_b32_e32 v18, 0x7f, v1
	s_delay_alu instid0(VALU_DEP_3)
	v_cmpx_ne_u64_e32 0x7f800000, v[10:11]
	s_xor_b32 s5, exec_lo, s0
	s_cbranch_execz .LBB33_48
; %bb.39:                               ;   in Loop: Header=BB33_18 Depth=1
	v_and_b32_e32 v10, 0x7fffffff, v19
	s_mov_b32 s0, exec_lo
	s_delay_alu instid0(VALU_DEP_1)
	v_cmpx_gt_u64_e32 0x43700001, v[10:11]
	s_xor_b32 s6, exec_lo, s0
	s_cbranch_execz .LBB33_47
; %bb.40:                               ;   in Loop: Header=BB33_18 Depth=1
	v_mov_b32_e32 v18, 0
	s_mov_b32 s7, exec_lo
	v_cmpx_ne_u32_e32 0, v19
	s_cbranch_execz .LBB33_46
; %bb.41:                               ;   in Loop: Header=BB33_18 Depth=1
	v_bfe_u32 v5, v19, 23, 8
	v_and_b32_e32 v18, 0x7fffff, v19
	s_delay_alu instid0(VALU_DEP_2) | instskip(SKIP_2) | instid1(VALU_DEP_3)
	v_sub_nc_u32_e64 v10, 0x78, v5 clamp
	v_cmp_eq_u32_e32 vcc_lo, 0, v5
	v_add_nc_u32_e32 v5, 0xffffff89, v5
	v_cndmask_b32_e64 v28, v10, 0x77, vcc_lo
	v_or_b32_e32 v10, 0x800000, v18
	s_delay_alu instid0(VALU_DEP_3) | instskip(NEXT) | instid1(VALU_DEP_2)
	v_cndmask_b32_e64 v5, v5, 0xffffff8a, vcc_lo
	v_dual_cndmask_b32 v10, v10, v18 :: v_dual_add_nc_u32 v19, 20, v28
	v_add_nc_u32_e32 v24, 19, v28
	s_delay_alu instid0(VALU_DEP_2) | instskip(NEXT) | instid1(VALU_DEP_3)
	v_lshlrev_b64 v[18:19], v19, -1
	v_lshrrev_b64 v[26:27], v28, v[10:11]
	s_delay_alu instid0(VALU_DEP_3) | instskip(SKIP_1) | instid1(VALU_DEP_4)
	v_lshlrev_b64 v[24:25], v24, 1
	v_mov_b32_e32 v19, v11
	v_not_b32_e32 v18, v18
	s_delay_alu instid0(VALU_DEP_1) | instskip(SKIP_1) | instid1(VALU_DEP_2)
	v_and_b32_e32 v18, v10, v18
	v_and_b32_e32 v10, 0x100000, v26
	v_cmp_eq_u64_e64 s0, v[18:19], v[24:25]
	s_delay_alu instid0(VALU_DEP_2) | instskip(SKIP_1) | instid1(VALU_DEP_1)
	v_cmp_eq_u64_e64 s1, 0, v[10:11]
	v_lshrrev_b32_e32 v10, 23, v26
	v_add3_u32 v24, v5, v28, v10
	s_delay_alu instid0(VALU_DEP_3) | instskip(SKIP_2) | instid1(VALU_DEP_2)
	s_and_b32 vcc_lo, s1, s0
	s_mov_b32 s0, exec_lo
	v_subrev_co_ci_u32_e32 v18, vcc_lo, 0, v26, vcc_lo
	v_add_nc_u32_e32 v25, -1, v24
	s_delay_alu instid0(VALU_DEP_2) | instskip(NEXT) | instid1(VALU_DEP_1)
	v_and_b32_e32 v5, 0xfffff, v18
	v_add_co_u32 v18, vcc_lo, v5, v26
	v_add_co_ci_u32_e32 v19, vcc_lo, 0, v27, vcc_lo
                                        ; implicit-def: $vgpr5
	s_delay_alu instid0(VALU_DEP_4)
	v_cmpx_ne_u32_e32 0, v25
	s_xor_b32 s0, exec_lo, s0
; %bb.42:                               ;   in Loop: Header=BB33_18 Depth=1
	s_delay_alu instid0(VALU_DEP_3) | instskip(SKIP_1) | instid1(VALU_DEP_2)
	v_and_b32_e32 v10, 0x1000000, v18
	v_bfe_u32 v5, v18, 24, 1
	v_cmp_eq_u64_e32 vcc_lo, 0, v[10:11]
	s_delay_alu instid0(VALU_DEP_2)
	v_lshrrev_b64 v[18:19], v5, v[18:19]
	v_cndmask_b32_e32 v5, v24, v25, vcc_lo
; %bb.43:                               ;   in Loop: Header=BB33_18 Depth=1
	s_and_not1_saveexec_b32 s0, s0
; %bb.44:                               ;   in Loop: Header=BB33_18 Depth=1
	s_delay_alu instid0(VALU_DEP_2)
	v_bfe_u32 v5, v18, 23, 1
; %bb.45:                               ;   in Loop: Header=BB33_18 Depth=1
	s_or_b32 exec_lo, exec_lo, s0
	s_delay_alu instid0(VALU_DEP_3) | instskip(NEXT) | instid1(VALU_DEP_2)
	v_lshrrev_b64 v[18:19], 20, v[18:19]
	v_cmp_gt_i32_e32 vcc_lo, 16, v5
	v_and_b32_e32 v1, 0x80, v1
	v_min_i32_e32 v10, 15, v5
	v_cmp_eq_u32_e64 s0, 0, v5
	v_dual_cndmask_b32 v18, 7, v18 :: v_dual_cndmask_b32 v19, 0, v19
	s_delay_alu instid0(VALU_DEP_3) | instskip(NEXT) | instid1(VALU_DEP_2)
	v_lshl_or_b32 v1, v10, 3, v1
	v_cmp_eq_u64_e32 vcc_lo, 0, v[18:19]
	s_delay_alu instid0(VALU_DEP_2)
	v_and_or_b32 v1, v18, 7, v1
	s_and_b32 s0, s0, vcc_lo
	s_delay_alu instid0(VALU_DEP_1) | instid1(SALU_CYCLE_1)
	v_cndmask_b32_e64 v18, v1, 0, s0
.LBB33_46:                              ;   in Loop: Header=BB33_18 Depth=1
	s_or_b32 exec_lo, exec_lo, s7
.LBB33_47:                              ;   in Loop: Header=BB33_18 Depth=1
	s_and_not1_saveexec_b32 s0, s6
	s_delay_alu instid0(SALU_CYCLE_1)
	s_or_b32 exec_lo, exec_lo, s0
.LBB33_48:                              ;   in Loop: Header=BB33_18 Depth=1
	s_and_not1_saveexec_b32 s0, s5
	s_delay_alu instid0(SALU_CYCLE_1)
	s_or_b32 exec_lo, exec_lo, s0
	v_lshrrev_b32_e32 v1, 16, v6
	v_fma_mixlo_f16 v2, v22, v2, 0 op_sel:[0,1,0] op_sel_hi:[0,1,0]
	global_store_b8 v[16:17], v18, off offset:2
	s_mov_b32 s0, exec_lo
	v_mul_f16_e32 v1, v1, v2
	s_delay_alu instid0(VALU_DEP_1) | instskip(NEXT) | instid1(VALU_DEP_1)
	v_cvt_f32_f16_e32 v1, v1
	v_mul_f32_e32 v1, v23, v1
	s_delay_alu instid0(VALU_DEP_1) | instskip(NEXT) | instid1(VALU_DEP_1)
	v_minmax_f32 v1, v1, s4, 0xc3600000
	v_lshrrev_b32_e32 v5, 24, v1
	v_and_b32_e32 v10, 0x7f800000, v1
	s_delay_alu instid0(VALU_DEP_2) | instskip(NEXT) | instid1(VALU_DEP_2)
	v_or_b32_e32 v2, 0x7f, v5
	v_cmpx_ne_u64_e32 0x7f800000, v[10:11]
	s_xor_b32 s5, exec_lo, s0
	s_cbranch_execz .LBB33_58
; %bb.49:                               ;   in Loop: Header=BB33_18 Depth=1
	v_and_b32_e32 v10, 0x7fffffff, v1
	s_mov_b32 s0, exec_lo
	s_delay_alu instid0(VALU_DEP_1)
	v_cmpx_gt_u64_e32 0x43700001, v[10:11]
	s_xor_b32 s6, exec_lo, s0
	s_cbranch_execz .LBB33_57
; %bb.50:                               ;   in Loop: Header=BB33_18 Depth=1
	v_mov_b32_e32 v2, 0
	s_mov_b32 s7, exec_lo
	v_cmpx_ne_u32_e32 0, v1
	s_cbranch_execz .LBB33_56
; %bb.51:                               ;   in Loop: Header=BB33_18 Depth=1
	v_bfe_u32 v6, v1, 23, 8
	v_and_b32_e32 v1, 0x7fffff, v1
	s_delay_alu instid0(VALU_DEP_2) | instskip(SKIP_2) | instid1(VALU_DEP_3)
	v_sub_nc_u32_e64 v2, 0x78, v6 clamp
	v_cmp_eq_u32_e32 vcc_lo, 0, v6
	v_add_nc_u32_e32 v6, 0xffffff89, v6
	v_cndmask_b32_e64 v26, v2, 0x77, vcc_lo
	v_or_b32_e32 v2, 0x800000, v1
	s_delay_alu instid0(VALU_DEP_2) | instskip(NEXT) | instid1(VALU_DEP_2)
	v_add_nc_u32_e32 v18, 20, v26
	v_cndmask_b32_e32 v10, v2, v1, vcc_lo
	s_delay_alu instid0(VALU_DEP_2) | instskip(SKIP_1) | instid1(VALU_DEP_3)
	v_lshlrev_b64 v[1:2], v18, -1
	v_add_nc_u32_e32 v18, 19, v26
	v_lshrrev_b64 v[24:25], v26, v[10:11]
	v_mov_b32_e32 v2, v11
	s_delay_alu instid0(VALU_DEP_3) | instskip(SKIP_1) | instid1(VALU_DEP_1)
	v_lshlrev_b64 v[18:19], v18, 1
	v_not_b32_e32 v1, v1
	v_and_b32_e32 v1, v10, v1
	v_and_b32_e32 v10, 0x100000, v24
	s_delay_alu instid0(VALU_DEP_2) | instskip(NEXT) | instid1(VALU_DEP_2)
	v_cmp_eq_u64_e64 s0, v[1:2], v[18:19]
	v_cmp_eq_u64_e64 s1, 0, v[10:11]
	v_cndmask_b32_e64 v1, v6, 0xffffff8a, vcc_lo
	v_lshrrev_b32_e32 v2, 23, v24
	s_delay_alu instid0(VALU_DEP_3) | instskip(NEXT) | instid1(VALU_DEP_1)
	s_and_b32 vcc_lo, s1, s0
	v_add3_u32 v18, v1, v26, v2
	v_subrev_co_ci_u32_e32 v6, vcc_lo, 0, v24, vcc_lo
	s_mov_b32 s0, exec_lo
	s_delay_alu instid0(VALU_DEP_2) | instskip(NEXT) | instid1(VALU_DEP_2)
	v_add_nc_u32_e32 v19, -1, v18
	v_and_b32_e32 v1, 0xfffff, v6
                                        ; implicit-def: $vgpr6
	s_delay_alu instid0(VALU_DEP_1) | instskip(SKIP_1) | instid1(VALU_DEP_4)
	v_add_co_u32 v1, vcc_lo, v1, v24
	v_add_co_ci_u32_e32 v2, vcc_lo, 0, v25, vcc_lo
	v_cmpx_ne_u32_e32 0, v19
	s_xor_b32 s0, exec_lo, s0
; %bb.52:                               ;   in Loop: Header=BB33_18 Depth=1
	s_delay_alu instid0(VALU_DEP_3) | instskip(SKIP_1) | instid1(VALU_DEP_2)
	v_and_b32_e32 v10, 0x1000000, v1
	v_bfe_u32 v6, v1, 24, 1
	v_cmp_eq_u64_e32 vcc_lo, 0, v[10:11]
	s_delay_alu instid0(VALU_DEP_2)
	v_lshrrev_b64 v[1:2], v6, v[1:2]
	v_cndmask_b32_e32 v6, v18, v19, vcc_lo
; %bb.53:                               ;   in Loop: Header=BB33_18 Depth=1
	s_and_not1_saveexec_b32 s0, s0
; %bb.54:                               ;   in Loop: Header=BB33_18 Depth=1
	s_delay_alu instid0(VALU_DEP_2)
	v_bfe_u32 v6, v1, 23, 1
; %bb.55:                               ;   in Loop: Header=BB33_18 Depth=1
	s_or_b32 exec_lo, exec_lo, s0
	s_delay_alu instid0(VALU_DEP_3) | instskip(NEXT) | instid1(VALU_DEP_2)
	v_lshrrev_b64 v[1:2], 20, v[1:2]
	v_cmp_gt_i32_e32 vcc_lo, 16, v6
	v_and_b32_e32 v5, 0x80, v5
	v_min_i32_e32 v10, 15, v6
	v_cmp_eq_u32_e64 s0, 0, v6
	v_dual_cndmask_b32 v2, 0, v2 :: v_dual_cndmask_b32 v1, 7, v1
	s_delay_alu instid0(VALU_DEP_3) | instskip(NEXT) | instid1(VALU_DEP_2)
	v_lshl_or_b32 v5, v10, 3, v5
	v_cmp_eq_u64_e32 vcc_lo, 0, v[1:2]
	s_delay_alu instid0(VALU_DEP_2)
	v_and_or_b32 v1, v1, 7, v5
	s_and_b32 s0, s0, vcc_lo
	s_delay_alu instid0(VALU_DEP_1) | instid1(SALU_CYCLE_1)
	v_cndmask_b32_e64 v2, v1, 0, s0
.LBB33_56:                              ;   in Loop: Header=BB33_18 Depth=1
	s_or_b32 exec_lo, exec_lo, s7
.LBB33_57:                              ;   in Loop: Header=BB33_18 Depth=1
	s_and_not1_saveexec_b32 s0, s6
	s_delay_alu instid0(SALU_CYCLE_1)
	s_or_b32 exec_lo, exec_lo, s0
.LBB33_58:                              ;   in Loop: Header=BB33_18 Depth=1
	s_and_not1_saveexec_b32 s0, s5
	s_delay_alu instid0(SALU_CYCLE_1) | instskip(SKIP_4) | instid1(VALU_DEP_1)
	s_or_b32 exec_lo, exec_lo, s0
	v_fma_mixlo_f16 v1, v22, v3, 0 op_sel_hi:[0,1,0]
	global_store_b8 v[16:17], v2, off offset:3
	s_mov_b32 s0, exec_lo
	v_mul_f16_e32 v1, v7, v1
	v_cvt_f32_f16_e32 v1, v1
	s_delay_alu instid0(VALU_DEP_1) | instskip(NEXT) | instid1(VALU_DEP_1)
	v_mul_f32_e32 v1, v23, v1
	v_minmax_f32 v6, v1, s4, 0xc3600000
	s_delay_alu instid0(VALU_DEP_1) | instskip(SKIP_1) | instid1(VALU_DEP_1)
	v_and_b32_e32 v10, 0x7f800000, v6
	v_lshrrev_b32_e32 v5, 24, v6
	v_or_b32_e32 v1, 0x7f, v5
	s_delay_alu instid0(VALU_DEP_3)
	v_cmpx_ne_u64_e32 0x7f800000, v[10:11]
	s_xor_b32 s5, exec_lo, s0
	s_cbranch_execz .LBB33_68
; %bb.59:                               ;   in Loop: Header=BB33_18 Depth=1
	v_and_b32_e32 v10, 0x7fffffff, v6
	s_mov_b32 s0, exec_lo
	s_delay_alu instid0(VALU_DEP_1)
	v_cmpx_gt_u64_e32 0x43700001, v[10:11]
	s_xor_b32 s6, exec_lo, s0
	s_cbranch_execz .LBB33_67
; %bb.60:                               ;   in Loop: Header=BB33_18 Depth=1
	v_mov_b32_e32 v1, 0
	s_mov_b32 s7, exec_lo
	v_cmpx_ne_u32_e32 0, v6
	s_cbranch_execz .LBB33_66
; %bb.61:                               ;   in Loop: Header=BB33_18 Depth=1
	v_bfe_u32 v26, v6, 23, 8
	v_and_b32_e32 v2, 0x7fffff, v6
	s_delay_alu instid0(VALU_DEP_2) | instskip(SKIP_2) | instid1(VALU_DEP_3)
	v_sub_nc_u32_e64 v1, 0x78, v26 clamp
	v_cmp_eq_u32_e32 vcc_lo, 0, v26
	v_add_nc_u32_e32 v26, 0xffffff89, v26
	v_cndmask_b32_e64 v6, v1, 0x77, vcc_lo
	v_or_b32_e32 v1, 0x800000, v2
	s_delay_alu instid0(VALU_DEP_2) | instskip(NEXT) | instid1(VALU_DEP_2)
	v_add_nc_u32_e32 v18, 20, v6
	v_cndmask_b32_e32 v10, v1, v2, vcc_lo
	s_delay_alu instid0(VALU_DEP_2) | instskip(SKIP_1) | instid1(VALU_DEP_3)
	v_lshlrev_b64 v[1:2], v18, -1
	v_add_nc_u32_e32 v18, 19, v6
	v_lshrrev_b64 v[24:25], v6, v[10:11]
	s_delay_alu instid0(VALU_DEP_2) | instskip(NEXT) | instid1(VALU_DEP_4)
	v_lshlrev_b64 v[18:19], v18, 1
	v_not_b32_e32 v1, v1
	s_delay_alu instid0(VALU_DEP_1) | instskip(NEXT) | instid1(VALU_DEP_4)
	v_dual_mov_b32 v2, v11 :: v_dual_and_b32 v1, v10, v1
	v_and_b32_e32 v10, 0x100000, v24
	s_delay_alu instid0(VALU_DEP_2) | instskip(NEXT) | instid1(VALU_DEP_2)
	v_cmp_eq_u64_e64 s0, v[1:2], v[18:19]
	v_cmp_eq_u64_e64 s1, 0, v[10:11]
	v_cndmask_b32_e64 v1, v26, 0xffffff8a, vcc_lo
	v_lshrrev_b32_e32 v2, 23, v24
	s_delay_alu instid0(VALU_DEP_3) | instskip(NEXT) | instid1(VALU_DEP_1)
	s_and_b32 vcc_lo, s1, s0
	v_add3_u32 v18, v1, v6, v2
	v_subrev_co_ci_u32_e32 v10, vcc_lo, 0, v24, vcc_lo
	s_mov_b32 s0, exec_lo
                                        ; implicit-def: $vgpr6
	s_delay_alu instid0(VALU_DEP_2) | instskip(NEXT) | instid1(VALU_DEP_2)
	v_add_nc_u32_e32 v19, -1, v18
	v_and_b32_e32 v1, 0xfffff, v10
	s_delay_alu instid0(VALU_DEP_1) | instskip(SKIP_1) | instid1(VALU_DEP_4)
	v_add_co_u32 v1, vcc_lo, v1, v24
	v_add_co_ci_u32_e32 v2, vcc_lo, 0, v25, vcc_lo
	v_cmpx_ne_u32_e32 0, v19
	s_xor_b32 s0, exec_lo, s0
; %bb.62:                               ;   in Loop: Header=BB33_18 Depth=1
	s_delay_alu instid0(VALU_DEP_3) | instskip(SKIP_1) | instid1(VALU_DEP_2)
	v_and_b32_e32 v10, 0x1000000, v1
	v_bfe_u32 v6, v1, 24, 1
	v_cmp_eq_u64_e32 vcc_lo, 0, v[10:11]
	s_delay_alu instid0(VALU_DEP_2)
	v_lshrrev_b64 v[1:2], v6, v[1:2]
	v_cndmask_b32_e32 v6, v18, v19, vcc_lo
; %bb.63:                               ;   in Loop: Header=BB33_18 Depth=1
	s_and_not1_saveexec_b32 s0, s0
; %bb.64:                               ;   in Loop: Header=BB33_18 Depth=1
	s_delay_alu instid0(VALU_DEP_2)
	v_bfe_u32 v6, v1, 23, 1
; %bb.65:                               ;   in Loop: Header=BB33_18 Depth=1
	s_or_b32 exec_lo, exec_lo, s0
	s_delay_alu instid0(VALU_DEP_3) | instskip(NEXT) | instid1(VALU_DEP_2)
	v_lshrrev_b64 v[1:2], 20, v[1:2]
	v_cmp_gt_i32_e32 vcc_lo, 16, v6
	v_and_b32_e32 v5, 0x80, v5
	v_min_i32_e32 v10, 15, v6
	v_cmp_eq_u32_e64 s0, 0, v6
	v_dual_cndmask_b32 v2, 0, v2 :: v_dual_cndmask_b32 v1, 7, v1
	s_delay_alu instid0(VALU_DEP_3) | instskip(NEXT) | instid1(VALU_DEP_2)
	v_lshl_or_b32 v5, v10, 3, v5
	v_cmp_eq_u64_e32 vcc_lo, 0, v[1:2]
	s_delay_alu instid0(VALU_DEP_2)
	v_and_or_b32 v1, v1, 7, v5
	s_and_b32 s0, s0, vcc_lo
	s_delay_alu instid0(VALU_DEP_1) | instid1(SALU_CYCLE_1)
	v_cndmask_b32_e64 v1, v1, 0, s0
.LBB33_66:                              ;   in Loop: Header=BB33_18 Depth=1
	s_or_b32 exec_lo, exec_lo, s7
.LBB33_67:                              ;   in Loop: Header=BB33_18 Depth=1
	s_and_not1_saveexec_b32 s0, s6
	s_delay_alu instid0(SALU_CYCLE_1)
	s_or_b32 exec_lo, exec_lo, s0
.LBB33_68:                              ;   in Loop: Header=BB33_18 Depth=1
	s_and_not1_saveexec_b32 s0, s5
	s_delay_alu instid0(SALU_CYCLE_1)
	s_or_b32 exec_lo, exec_lo, s0
	v_lshrrev_b32_e32 v2, 16, v7
	v_fma_mixlo_f16 v3, v22, v3, 0 op_sel:[0,1,0] op_sel_hi:[0,1,0]
	global_store_b8 v[16:17], v1, off offset:4
	s_mov_b32 s0, exec_lo
	v_mul_f16_e32 v2, v2, v3
	s_delay_alu instid0(VALU_DEP_1) | instskip(NEXT) | instid1(VALU_DEP_1)
	v_cvt_f32_f16_e32 v2, v2
	v_mul_f32_e32 v2, v23, v2
	s_delay_alu instid0(VALU_DEP_1) | instskip(NEXT) | instid1(VALU_DEP_1)
	v_minmax_f32 v5, v2, s4, 0xc3600000
	v_lshrrev_b32_e32 v3, 24, v5
	v_and_b32_e32 v10, 0x7f800000, v5
	s_delay_alu instid0(VALU_DEP_2) | instskip(NEXT) | instid1(VALU_DEP_2)
	v_or_b32_e32 v2, 0x7f, v3
	v_cmpx_ne_u64_e32 0x7f800000, v[10:11]
	s_xor_b32 s5, exec_lo, s0
	s_cbranch_execz .LBB33_78
; %bb.69:                               ;   in Loop: Header=BB33_18 Depth=1
	v_and_b32_e32 v10, 0x7fffffff, v5
	s_mov_b32 s0, exec_lo
	s_delay_alu instid0(VALU_DEP_1)
	v_cmpx_gt_u64_e32 0x43700001, v[10:11]
	s_xor_b32 s6, exec_lo, s0
	s_cbranch_execz .LBB33_77
; %bb.70:                               ;   in Loop: Header=BB33_18 Depth=1
	v_mov_b32_e32 v2, 0
	s_mov_b32 s7, exec_lo
	v_cmpx_ne_u32_e32 0, v5
	s_cbranch_execz .LBB33_76
; %bb.71:                               ;   in Loop: Header=BB33_18 Depth=1
	v_bfe_u32 v7, v5, 23, 8
	v_and_b32_e32 v2, 0x7fffff, v5
	s_delay_alu instid0(VALU_DEP_2) | instskip(SKIP_2) | instid1(VALU_DEP_3)
	v_sub_nc_u32_e64 v1, 0x78, v7 clamp
	v_cmp_eq_u32_e32 vcc_lo, 0, v7
	v_add_nc_u32_e32 v7, 0xffffff89, v7
	v_cndmask_b32_e64 v24, v1, 0x77, vcc_lo
	v_or_b32_e32 v1, 0x800000, v2
	s_delay_alu instid0(VALU_DEP_1) | instskip(NEXT) | instid1(VALU_DEP_1)
	v_dual_cndmask_b32 v10, v1, v2 :: v_dual_add_nc_u32 v5, 20, v24
	v_lshlrev_b64 v[1:2], v5, -1
	v_dual_mov_b32 v2, v11 :: v_dual_add_nc_u32 v5, 19, v24
	s_delay_alu instid0(VALU_DEP_3) | instskip(NEXT) | instid1(VALU_DEP_2)
	v_lshrrev_b64 v[18:19], v24, v[10:11]
	v_lshlrev_b64 v[5:6], v5, 1
	s_delay_alu instid0(VALU_DEP_4) | instskip(NEXT) | instid1(VALU_DEP_1)
	v_not_b32_e32 v1, v1
	v_and_b32_e32 v1, v10, v1
	s_delay_alu instid0(VALU_DEP_4) | instskip(NEXT) | instid1(VALU_DEP_2)
	v_and_b32_e32 v10, 0x100000, v18
	v_cmp_eq_u64_e64 s0, v[1:2], v[5:6]
	s_delay_alu instid0(VALU_DEP_2) | instskip(SKIP_2) | instid1(VALU_DEP_3)
	v_cmp_eq_u64_e64 s1, 0, v[10:11]
	v_cndmask_b32_e64 v1, v7, 0xffffff8a, vcc_lo
	v_lshrrev_b32_e32 v2, 23, v18
	s_and_b32 vcc_lo, s1, s0
	s_delay_alu instid0(VALU_DEP_1) | instskip(SKIP_2) | instid1(VALU_DEP_2)
	v_add3_u32 v6, v1, v24, v2
	v_subrev_co_ci_u32_e32 v5, vcc_lo, 0, v18, vcc_lo
	s_mov_b32 s0, exec_lo
	v_add_nc_u32_e32 v7, -1, v6
	s_delay_alu instid0(VALU_DEP_2) | instskip(NEXT) | instid1(VALU_DEP_1)
	v_and_b32_e32 v1, 0xfffff, v5
                                        ; implicit-def: $vgpr5
	v_add_co_u32 v1, vcc_lo, v1, v18
	v_add_co_ci_u32_e32 v2, vcc_lo, 0, v19, vcc_lo
	s_delay_alu instid0(VALU_DEP_4)
	v_cmpx_ne_u32_e32 0, v7
	s_xor_b32 s0, exec_lo, s0
; %bb.72:                               ;   in Loop: Header=BB33_18 Depth=1
	s_delay_alu instid0(VALU_DEP_3) | instskip(SKIP_1) | instid1(VALU_DEP_2)
	v_and_b32_e32 v10, 0x1000000, v1
	v_bfe_u32 v5, v1, 24, 1
	v_cmp_eq_u64_e32 vcc_lo, 0, v[10:11]
	s_delay_alu instid0(VALU_DEP_2)
	v_lshrrev_b64 v[1:2], v5, v[1:2]
	v_cndmask_b32_e32 v5, v6, v7, vcc_lo
; %bb.73:                               ;   in Loop: Header=BB33_18 Depth=1
	s_and_not1_saveexec_b32 s0, s0
; %bb.74:                               ;   in Loop: Header=BB33_18 Depth=1
	s_delay_alu instid0(VALU_DEP_2)
	v_bfe_u32 v5, v1, 23, 1
; %bb.75:                               ;   in Loop: Header=BB33_18 Depth=1
	s_or_b32 exec_lo, exec_lo, s0
	s_delay_alu instid0(VALU_DEP_3) | instskip(NEXT) | instid1(VALU_DEP_2)
	v_lshrrev_b64 v[1:2], 20, v[1:2]
	v_cmp_gt_i32_e32 vcc_lo, 16, v5
	v_and_b32_e32 v3, 0x80, v3
	v_min_i32_e32 v6, 15, v5
	v_cmp_eq_u32_e64 s0, 0, v5
	v_dual_cndmask_b32 v2, 0, v2 :: v_dual_cndmask_b32 v1, 7, v1
	s_delay_alu instid0(VALU_DEP_3) | instskip(NEXT) | instid1(VALU_DEP_2)
	v_lshl_or_b32 v3, v6, 3, v3
	v_cmp_eq_u64_e32 vcc_lo, 0, v[1:2]
	s_delay_alu instid0(VALU_DEP_2)
	v_and_or_b32 v1, v1, 7, v3
	s_and_b32 s0, s0, vcc_lo
	s_delay_alu instid0(VALU_DEP_1) | instid1(SALU_CYCLE_1)
	v_cndmask_b32_e64 v2, v1, 0, s0
.LBB33_76:                              ;   in Loop: Header=BB33_18 Depth=1
	s_or_b32 exec_lo, exec_lo, s7
.LBB33_77:                              ;   in Loop: Header=BB33_18 Depth=1
	s_and_not1_saveexec_b32 s0, s6
	s_delay_alu instid0(SALU_CYCLE_1)
	s_or_b32 exec_lo, exec_lo, s0
.LBB33_78:                              ;   in Loop: Header=BB33_18 Depth=1
	s_and_not1_saveexec_b32 s0, s5
	s_delay_alu instid0(SALU_CYCLE_1) | instskip(SKIP_4) | instid1(VALU_DEP_1)
	s_or_b32 exec_lo, exec_lo, s0
	v_fma_mixlo_f16 v1, v22, v4, 0 op_sel_hi:[0,1,0]
	global_store_b8 v[16:17], v2, off offset:5
	s_mov_b32 s0, exec_lo
	v_mul_f16_e32 v1, v8, v1
	v_cvt_f32_f16_e32 v1, v1
	s_delay_alu instid0(VALU_DEP_1) | instskip(NEXT) | instid1(VALU_DEP_1)
	v_mul_f32_e32 v1, v23, v1
	v_minmax_f32 v5, v1, s4, 0xc3600000
	s_delay_alu instid0(VALU_DEP_1) | instskip(SKIP_1) | instid1(VALU_DEP_2)
	v_lshrrev_b32_e32 v3, 24, v5
	v_and_b32_e32 v10, 0x7f800000, v5
	v_or_b32_e32 v1, 0x7f, v3
	s_delay_alu instid0(VALU_DEP_2)
	v_cmpx_ne_u64_e32 0x7f800000, v[10:11]
	s_xor_b32 s5, exec_lo, s0
	s_cbranch_execz .LBB33_88
; %bb.79:                               ;   in Loop: Header=BB33_18 Depth=1
	v_and_b32_e32 v10, 0x7fffffff, v5
	s_mov_b32 s0, exec_lo
	s_delay_alu instid0(VALU_DEP_1)
	v_cmpx_gt_u64_e32 0x43700001, v[10:11]
	s_xor_b32 s6, exec_lo, s0
	s_cbranch_execz .LBB33_87
; %bb.80:                               ;   in Loop: Header=BB33_18 Depth=1
	v_mov_b32_e32 v1, 0
	s_mov_b32 s7, exec_lo
	v_cmpx_ne_u32_e32 0, v5
	s_cbranch_execz .LBB33_86
; %bb.81:                               ;   in Loop: Header=BB33_18 Depth=1
	v_bfe_u32 v7, v5, 23, 8
	v_and_b32_e32 v2, 0x7fffff, v5
	s_delay_alu instid0(VALU_DEP_2) | instskip(SKIP_2) | instid1(VALU_DEP_3)
	v_sub_nc_u32_e64 v1, 0x78, v7 clamp
	v_cmp_eq_u32_e32 vcc_lo, 0, v7
	v_add_nc_u32_e32 v7, 0xffffff89, v7
	v_cndmask_b32_e64 v24, v1, 0x77, vcc_lo
	v_or_b32_e32 v1, 0x800000, v2
	s_delay_alu instid0(VALU_DEP_1) | instskip(NEXT) | instid1(VALU_DEP_1)
	v_dual_cndmask_b32 v10, v1, v2 :: v_dual_add_nc_u32 v5, 20, v24
	v_lshlrev_b64 v[1:2], v5, -1
	v_dual_mov_b32 v2, v11 :: v_dual_add_nc_u32 v5, 19, v24
	s_delay_alu instid0(VALU_DEP_3) | instskip(NEXT) | instid1(VALU_DEP_2)
	v_lshrrev_b64 v[18:19], v24, v[10:11]
	v_lshlrev_b64 v[5:6], v5, 1
	s_delay_alu instid0(VALU_DEP_4) | instskip(NEXT) | instid1(VALU_DEP_1)
	v_not_b32_e32 v1, v1
	v_and_b32_e32 v1, v10, v1
	s_delay_alu instid0(VALU_DEP_4) | instskip(NEXT) | instid1(VALU_DEP_2)
	v_and_b32_e32 v10, 0x100000, v18
	v_cmp_eq_u64_e64 s0, v[1:2], v[5:6]
	s_delay_alu instid0(VALU_DEP_2) | instskip(SKIP_2) | instid1(VALU_DEP_3)
	v_cmp_eq_u64_e64 s1, 0, v[10:11]
	v_cndmask_b32_e64 v1, v7, 0xffffff8a, vcc_lo
	v_lshrrev_b32_e32 v2, 23, v18
	s_and_b32 vcc_lo, s1, s0
	s_delay_alu instid0(VALU_DEP_1) | instskip(SKIP_2) | instid1(VALU_DEP_2)
	v_add3_u32 v6, v1, v24, v2
	v_subrev_co_ci_u32_e32 v5, vcc_lo, 0, v18, vcc_lo
	s_mov_b32 s0, exec_lo
	v_add_nc_u32_e32 v7, -1, v6
	s_delay_alu instid0(VALU_DEP_2) | instskip(NEXT) | instid1(VALU_DEP_1)
	v_and_b32_e32 v1, 0xfffff, v5
                                        ; implicit-def: $vgpr5
	v_add_co_u32 v1, vcc_lo, v1, v18
	v_add_co_ci_u32_e32 v2, vcc_lo, 0, v19, vcc_lo
	s_delay_alu instid0(VALU_DEP_4)
	v_cmpx_ne_u32_e32 0, v7
	s_xor_b32 s0, exec_lo, s0
; %bb.82:                               ;   in Loop: Header=BB33_18 Depth=1
	s_delay_alu instid0(VALU_DEP_3) | instskip(SKIP_1) | instid1(VALU_DEP_2)
	v_and_b32_e32 v10, 0x1000000, v1
	v_bfe_u32 v5, v1, 24, 1
	v_cmp_eq_u64_e32 vcc_lo, 0, v[10:11]
	s_delay_alu instid0(VALU_DEP_2)
	v_lshrrev_b64 v[1:2], v5, v[1:2]
	v_cndmask_b32_e32 v5, v6, v7, vcc_lo
; %bb.83:                               ;   in Loop: Header=BB33_18 Depth=1
	s_and_not1_saveexec_b32 s0, s0
; %bb.84:                               ;   in Loop: Header=BB33_18 Depth=1
	s_delay_alu instid0(VALU_DEP_2)
	v_bfe_u32 v5, v1, 23, 1
; %bb.85:                               ;   in Loop: Header=BB33_18 Depth=1
	s_or_b32 exec_lo, exec_lo, s0
	s_delay_alu instid0(VALU_DEP_3) | instskip(NEXT) | instid1(VALU_DEP_2)
	v_lshrrev_b64 v[1:2], 20, v[1:2]
	v_cmp_gt_i32_e32 vcc_lo, 16, v5
	v_and_b32_e32 v3, 0x80, v3
	v_min_i32_e32 v6, 15, v5
	v_cmp_eq_u32_e64 s0, 0, v5
	v_dual_cndmask_b32 v2, 0, v2 :: v_dual_cndmask_b32 v1, 7, v1
	s_delay_alu instid0(VALU_DEP_3) | instskip(NEXT) | instid1(VALU_DEP_2)
	v_lshl_or_b32 v3, v6, 3, v3
	v_cmp_eq_u64_e32 vcc_lo, 0, v[1:2]
	s_delay_alu instid0(VALU_DEP_2)
	v_and_or_b32 v1, v1, 7, v3
	s_and_b32 s0, s0, vcc_lo
	s_delay_alu instid0(VALU_DEP_1) | instid1(SALU_CYCLE_1)
	v_cndmask_b32_e64 v1, v1, 0, s0
.LBB33_86:                              ;   in Loop: Header=BB33_18 Depth=1
	s_or_b32 exec_lo, exec_lo, s7
.LBB33_87:                              ;   in Loop: Header=BB33_18 Depth=1
	s_and_not1_saveexec_b32 s0, s6
	s_delay_alu instid0(SALU_CYCLE_1)
	s_or_b32 exec_lo, exec_lo, s0
.LBB33_88:                              ;   in Loop: Header=BB33_18 Depth=1
	s_and_not1_saveexec_b32 s0, s5
	s_delay_alu instid0(SALU_CYCLE_1)
	s_or_b32 exec_lo, exec_lo, s0
	v_lshrrev_b32_e32 v2, 16, v8
	v_fma_mixlo_f16 v3, v22, v4, 0 op_sel:[0,1,0] op_sel_hi:[0,1,0]
	global_store_b8 v[16:17], v1, off offset:6
	s_mov_b32 s0, exec_lo
	v_mul_f16_e32 v2, v2, v3
	s_delay_alu instid0(VALU_DEP_1) | instskip(NEXT) | instid1(VALU_DEP_1)
	v_cvt_f32_f16_e32 v2, v2
	v_mul_f32_e32 v2, v23, v2
	s_delay_alu instid0(VALU_DEP_1) | instskip(NEXT) | instid1(VALU_DEP_1)
	v_minmax_f32 v4, v2, s4, 0xc3600000
	v_lshrrev_b32_e32 v3, 24, v4
	v_and_b32_e32 v10, 0x7f800000, v4
	s_delay_alu instid0(VALU_DEP_2) | instskip(NEXT) | instid1(VALU_DEP_2)
	v_or_b32_e32 v2, 0x7f, v3
	v_cmpx_ne_u64_e32 0x7f800000, v[10:11]
	s_xor_b32 s5, exec_lo, s0
	s_cbranch_execz .LBB33_17
; %bb.89:                               ;   in Loop: Header=BB33_18 Depth=1
	v_and_b32_e32 v10, 0x7fffffff, v4
	s_mov_b32 s0, exec_lo
	s_delay_alu instid0(VALU_DEP_1)
	v_cmpx_gt_u64_e32 0x43700001, v[10:11]
	s_xor_b32 s6, exec_lo, s0
	s_cbranch_execz .LBB33_16
; %bb.90:                               ;   in Loop: Header=BB33_18 Depth=1
	v_mov_b32_e32 v2, 0
	s_mov_b32 s7, exec_lo
	v_cmpx_ne_u32_e32 0, v4
	s_cbranch_execz .LBB33_15
; %bb.91:                               ;   in Loop: Header=BB33_18 Depth=1
	v_bfe_u32 v6, v4, 23, 8
	v_and_b32_e32 v2, 0x7fffff, v4
	s_delay_alu instid0(VALU_DEP_2) | instskip(SKIP_2) | instid1(VALU_DEP_3)
	v_sub_nc_u32_e64 v1, 0x78, v6 clamp
	v_cmp_eq_u32_e32 vcc_lo, 0, v6
	v_add_nc_u32_e32 v6, 0xffffff89, v6
	v_cndmask_b32_e64 v18, v1, 0x77, vcc_lo
	v_or_b32_e32 v1, 0x800000, v2
	s_delay_alu instid0(VALU_DEP_2) | instskip(NEXT) | instid1(VALU_DEP_2)
	v_add_nc_u32_e32 v4, 20, v18
	v_cndmask_b32_e32 v10, v1, v2, vcc_lo
	s_delay_alu instid0(VALU_DEP_2) | instskip(SKIP_1) | instid1(VALU_DEP_3)
	v_lshlrev_b64 v[1:2], v4, -1
	v_add_nc_u32_e32 v4, 19, v18
	v_lshrrev_b64 v[7:8], v18, v[10:11]
	s_delay_alu instid0(VALU_DEP_2) | instskip(NEXT) | instid1(VALU_DEP_4)
	v_lshlrev_b64 v[4:5], v4, 1
	v_not_b32_e32 v1, v1
	s_delay_alu instid0(VALU_DEP_1) | instskip(NEXT) | instid1(VALU_DEP_4)
	v_dual_mov_b32 v2, v11 :: v_dual_and_b32 v1, v10, v1
	v_and_b32_e32 v10, 0x100000, v7
	s_delay_alu instid0(VALU_DEP_2) | instskip(NEXT) | instid1(VALU_DEP_2)
	v_cmp_eq_u64_e64 s0, v[1:2], v[4:5]
	v_cmp_eq_u64_e64 s1, 0, v[10:11]
	v_cndmask_b32_e64 v1, v6, 0xffffff8a, vcc_lo
	v_lshrrev_b32_e32 v2, 23, v7
	s_delay_alu instid0(VALU_DEP_3) | instskip(NEXT) | instid1(VALU_DEP_1)
	s_and_b32 vcc_lo, s1, s0
	v_add3_u32 v5, v1, v18, v2
	v_subrev_co_ci_u32_e32 v4, vcc_lo, 0, v7, vcc_lo
	s_mov_b32 s0, exec_lo
	s_delay_alu instid0(VALU_DEP_2) | instskip(NEXT) | instid1(VALU_DEP_2)
	v_add_nc_u32_e32 v6, -1, v5
	v_and_b32_e32 v1, 0xfffff, v4
                                        ; implicit-def: $vgpr4
	s_delay_alu instid0(VALU_DEP_1) | instskip(SKIP_1) | instid1(VALU_DEP_4)
	v_add_co_u32 v1, vcc_lo, v1, v7
	v_add_co_ci_u32_e32 v2, vcc_lo, 0, v8, vcc_lo
	v_cmpx_ne_u32_e32 0, v6
	s_xor_b32 s0, exec_lo, s0
; %bb.92:                               ;   in Loop: Header=BB33_18 Depth=1
	s_delay_alu instid0(VALU_DEP_3) | instskip(SKIP_1) | instid1(VALU_DEP_2)
	v_and_b32_e32 v10, 0x1000000, v1
	v_bfe_u32 v4, v1, 24, 1
	v_cmp_eq_u64_e32 vcc_lo, 0, v[10:11]
	s_delay_alu instid0(VALU_DEP_2)
	v_lshrrev_b64 v[1:2], v4, v[1:2]
	v_cndmask_b32_e32 v4, v5, v6, vcc_lo
; %bb.93:                               ;   in Loop: Header=BB33_18 Depth=1
	s_and_not1_saveexec_b32 s0, s0
	s_cbranch_execz .LBB33_14
; %bb.94:                               ;   in Loop: Header=BB33_18 Depth=1
	s_delay_alu instid0(VALU_DEP_2)
	v_bfe_u32 v4, v1, 23, 1
	s_branch .LBB33_14
.LBB33_95:
	s_nop 0
	s_sendmsg sendmsg(MSG_DEALLOC_VGPRS)
	s_endpgm
	.section	.rodata,"a",@progbits
	.p2align	6, 0x0
	.amdhsa_kernel _ZN4vllm42fused_add_rms_norm_static_fp8_quant_kernelIN3c104HalfELi8ENS1_15Float8_e4m3fnuzEEENSt9enable_ifIXaagtT0_Li0Esr12_typeConvertIT_EE6existsEvE4typeEPT1_PS5_iSA_PKS5_PKffii
		.amdhsa_group_segment_fixed_size 132
		.amdhsa_private_segment_fixed_size 0
		.amdhsa_kernarg_size 320
		.amdhsa_user_sgpr_count 15
		.amdhsa_user_sgpr_dispatch_ptr 0
		.amdhsa_user_sgpr_queue_ptr 0
		.amdhsa_user_sgpr_kernarg_segment_ptr 1
		.amdhsa_user_sgpr_dispatch_id 0
		.amdhsa_user_sgpr_private_segment_size 0
		.amdhsa_wavefront_size32 1
		.amdhsa_uses_dynamic_stack 0
		.amdhsa_enable_private_segment 0
		.amdhsa_system_sgpr_workgroup_id_x 1
		.amdhsa_system_sgpr_workgroup_id_y 0
		.amdhsa_system_sgpr_workgroup_id_z 0
		.amdhsa_system_sgpr_workgroup_info 0
		.amdhsa_system_vgpr_workitem_id 0
		.amdhsa_next_free_vgpr 29
		.amdhsa_next_free_sgpr 21
		.amdhsa_reserve_vcc 1
		.amdhsa_float_round_mode_32 0
		.amdhsa_float_round_mode_16_64 0
		.amdhsa_float_denorm_mode_32 3
		.amdhsa_float_denorm_mode_16_64 3
		.amdhsa_dx10_clamp 1
		.amdhsa_ieee_mode 1
		.amdhsa_fp16_overflow 0
		.amdhsa_workgroup_processor_mode 1
		.amdhsa_memory_ordered 1
		.amdhsa_forward_progress 0
		.amdhsa_shared_vgpr_count 0
		.amdhsa_exception_fp_ieee_invalid_op 0
		.amdhsa_exception_fp_denorm_src 0
		.amdhsa_exception_fp_ieee_div_zero 0
		.amdhsa_exception_fp_ieee_overflow 0
		.amdhsa_exception_fp_ieee_underflow 0
		.amdhsa_exception_fp_ieee_inexact 0
		.amdhsa_exception_int_div_zero 0
	.end_amdhsa_kernel
	.section	.text._ZN4vllm42fused_add_rms_norm_static_fp8_quant_kernelIN3c104HalfELi8ENS1_15Float8_e4m3fnuzEEENSt9enable_ifIXaagtT0_Li0Esr12_typeConvertIT_EE6existsEvE4typeEPT1_PS5_iSA_PKS5_PKffii,"axG",@progbits,_ZN4vllm42fused_add_rms_norm_static_fp8_quant_kernelIN3c104HalfELi8ENS1_15Float8_e4m3fnuzEEENSt9enable_ifIXaagtT0_Li0Esr12_typeConvertIT_EE6existsEvE4typeEPT1_PS5_iSA_PKS5_PKffii,comdat
.Lfunc_end33:
	.size	_ZN4vllm42fused_add_rms_norm_static_fp8_quant_kernelIN3c104HalfELi8ENS1_15Float8_e4m3fnuzEEENSt9enable_ifIXaagtT0_Li0Esr12_typeConvertIT_EE6existsEvE4typeEPT1_PS5_iSA_PKS5_PKffii, .Lfunc_end33-_ZN4vllm42fused_add_rms_norm_static_fp8_quant_kernelIN3c104HalfELi8ENS1_15Float8_e4m3fnuzEEENSt9enable_ifIXaagtT0_Li0Esr12_typeConvertIT_EE6existsEvE4typeEPT1_PS5_iSA_PKS5_PKffii
                                        ; -- End function
	.section	.AMDGPU.csdata,"",@progbits
; Kernel info:
; codeLenInByte = 6052
; NumSgprs: 23
; NumVgprs: 29
; ScratchSize: 0
; MemoryBound: 0
; FloatMode: 240
; IeeeMode: 1
; LDSByteSize: 132 bytes/workgroup (compile time only)
; SGPRBlocks: 2
; VGPRBlocks: 3
; NumSGPRsForWavesPerEU: 23
; NumVGPRsForWavesPerEU: 29
; Occupancy: 16
; WaveLimiterHint : 0
; COMPUTE_PGM_RSRC2:SCRATCH_EN: 0
; COMPUTE_PGM_RSRC2:USER_SGPR: 15
; COMPUTE_PGM_RSRC2:TRAP_HANDLER: 0
; COMPUTE_PGM_RSRC2:TGID_X_EN: 1
; COMPUTE_PGM_RSRC2:TGID_Y_EN: 0
; COMPUTE_PGM_RSRC2:TGID_Z_EN: 0
; COMPUTE_PGM_RSRC2:TIDIG_COMP_CNT: 0
	.section	.text._ZN4vllm42fused_add_rms_norm_static_fp8_quant_kernelIN3c108BFloat16ELi8ENS1_13Float8_e4m3fnEEENSt9enable_ifIXaagtT0_Li0Esr12_typeConvertIT_EE6existsEvE4typeEPT1_PS5_iSA_PKS5_PKffii,"axG",@progbits,_ZN4vllm42fused_add_rms_norm_static_fp8_quant_kernelIN3c108BFloat16ELi8ENS1_13Float8_e4m3fnEEENSt9enable_ifIXaagtT0_Li0Esr12_typeConvertIT_EE6existsEvE4typeEPT1_PS5_iSA_PKS5_PKffii,comdat
	.protected	_ZN4vllm42fused_add_rms_norm_static_fp8_quant_kernelIN3c108BFloat16ELi8ENS1_13Float8_e4m3fnEEENSt9enable_ifIXaagtT0_Li0Esr12_typeConvertIT_EE6existsEvE4typeEPT1_PS5_iSA_PKS5_PKffii ; -- Begin function _ZN4vllm42fused_add_rms_norm_static_fp8_quant_kernelIN3c108BFloat16ELi8ENS1_13Float8_e4m3fnEEENSt9enable_ifIXaagtT0_Li0Esr12_typeConvertIT_EE6existsEvE4typeEPT1_PS5_iSA_PKS5_PKffii
	.globl	_ZN4vllm42fused_add_rms_norm_static_fp8_quant_kernelIN3c108BFloat16ELi8ENS1_13Float8_e4m3fnEEENSt9enable_ifIXaagtT0_Li0Esr12_typeConvertIT_EE6existsEvE4typeEPT1_PS5_iSA_PKS5_PKffii
	.p2align	8
	.type	_ZN4vllm42fused_add_rms_norm_static_fp8_quant_kernelIN3c108BFloat16ELi8ENS1_13Float8_e4m3fnEEENSt9enable_ifIXaagtT0_Li0Esr12_typeConvertIT_EE6existsEvE4typeEPT1_PS5_iSA_PKS5_PKffii,@function
_ZN4vllm42fused_add_rms_norm_static_fp8_quant_kernelIN3c108BFloat16ELi8ENS1_13Float8_e4m3fnEEENSt9enable_ifIXaagtT0_Li0Esr12_typeConvertIT_EE6existsEvE4typeEPT1_PS5_iSA_PKS5_PKffii: ; @_ZN4vllm42fused_add_rms_norm_static_fp8_quant_kernelIN3c108BFloat16ELi8ENS1_13Float8_e4m3fnEEENSt9enable_ifIXaagtT0_Li0Esr12_typeConvertIT_EE6existsEvE4typeEPT1_PS5_iSA_PKS5_PKffii
; %bb.0:
	s_clause 0x1
	s_load_b32 s16, s[0:1], 0x38
	s_load_b64 s[8:9], s[0:1], 0x18
	s_mov_b32 s4, exec_lo
                                        ; implicit-def: $sgpr13
                                        ; implicit-def: $sgpr12
	s_waitcnt lgkmcnt(0)
	s_ashr_i32 s2, s16, 31
	s_delay_alu instid0(SALU_CYCLE_1) | instskip(NEXT) | instid1(SALU_CYCLE_1)
	s_lshr_b32 s2, s2, 29
	s_add_i32 s2, s16, s2
	s_delay_alu instid0(SALU_CYCLE_1) | instskip(NEXT) | instid1(SALU_CYCLE_1)
	s_ashr_i32 s3, s2, 3
	v_cmp_gt_i32_e64 s2, s3, v0
	v_cmpx_le_i32_e64 s3, v0
	s_xor_b32 s4, exec_lo, s4
	s_cbranch_execz .LBB34_2
; %bb.1:
	s_load_b32 s5, s[0:1], 0x4c
	s_mov_b32 s13, 0
	s_waitcnt lgkmcnt(0)
	s_and_b32 s12, s5, 0xffff
.LBB34_2:
	s_or_saveexec_b32 s17, s4
	s_clause 0x1
	s_load_b64 s[10:11], s[0:1], 0x0
	s_load_b128 s[4:7], s[0:1], 0x20
	v_mov_b32_e32 v7, s13
	v_mov_b32_e32 v9, s12
	s_mul_i32 s14, s3, s15
	s_xor_b32 exec_lo, exec_lo, s17
	s_cbranch_execz .LBB34_38
; %bb.3:
	s_clause 0x2
	s_load_b32 s18, s[0:1], 0x10
	s_load_b32 s19, s[0:1], 0x4c
	s_load_b64 s[12:13], s[0:1], 0x8
	v_dual_mov_b32 v7, 0 :: v_dual_mov_b32 v8, v0
	s_waitcnt lgkmcnt(0)
	s_ashr_i32 s20, s18, 31
	s_delay_alu instid0(SALU_CYCLE_1) | instskip(NEXT) | instid1(SALU_CYCLE_1)
	s_lshr_b32 s20, s20, 29
	s_add_i32 s18, s18, s20
	s_delay_alu instid0(SALU_CYCLE_1)
	s_ashr_i32 s20, s18, 3
	s_and_b32 s18, s19, 0xffff
	s_mul_i32 s19, s20, s15
	s_mov_b32 s15, 0
	s_branch .LBB34_5
.LBB34_4:                               ;   in Loop: Header=BB34_5 Depth=1
	s_or_b32 exec_lo, exec_lo, s20
	v_and_b32_e32 v14, 0xffff0000, v2
	v_and_b32_e32 v13, 0xffff0000, v1
	;; [unrolled: 1-line block ×4, first 2 shown]
	v_perm_b32 v3, v3, v11, 0x7060302
	s_delay_alu instid0(VALU_DEP_4) | instskip(NEXT) | instid1(VALU_DEP_4)
	v_dual_mul_f32 v14, v14, v14 :: v_dual_mul_f32 v13, v13, v13
	v_mul_f32_e32 v17, v17, v17
	v_and_b32_e32 v15, 0xffff0000, v9
	v_perm_b32 v2, v2, v10, 0x7060302
	s_delay_alu instid0(VALU_DEP_4)
	v_fmac_f32_e32 v14, v16, v16
	v_add_nc_u32_e32 v8, s18, v8
	v_perm_b32 v1, v1, v9, 0x7060302
	v_fmac_f32_e32 v13, v15, v15
	v_and_b32_e32 v18, 0xffff0000, v11
	v_and_b32_e32 v15, 0xffff0000, v12
	;; [unrolled: 1-line block ×3, first 2 shown]
	v_cmp_le_i32_e32 vcc_lo, s3, v8
	v_add_f32_e32 v13, v13, v14
	v_fmac_f32_e32 v17, v18, v18
	v_perm_b32 v4, v4, v12, 0x7060302
	v_mul_f32_e32 v16, v19, v19
	s_or_b32 s15, vcc_lo, s15
	s_delay_alu instid0(VALU_DEP_3) | instskip(SKIP_2) | instid1(VALU_DEP_1)
	v_add_f32_e32 v13, v13, v17
	global_store_b128 v[5:6], v[1:4], off
	v_fmac_f32_e32 v16, v15, v15
	v_add_f32_e32 v13, v13, v16
	s_delay_alu instid0(VALU_DEP_1)
	v_add_f32_e32 v7, v7, v13
	s_and_not1_b32 exec_lo, exec_lo, s15
	s_cbranch_execz .LBB34_37
.LBB34_5:                               ; =>This Inner Loop Header: Depth=1
	v_add_nc_u32_e32 v1, s19, v8
	v_add_nc_u32_e32 v3, s14, v8
	s_delay_alu instid0(VALU_DEP_2) | instskip(NEXT) | instid1(VALU_DEP_2)
	v_ashrrev_i32_e32 v2, 31, v1
	v_ashrrev_i32_e32 v4, 31, v3
	s_delay_alu instid0(VALU_DEP_2) | instskip(NEXT) | instid1(VALU_DEP_2)
	v_lshlrev_b64 v[1:2], 4, v[1:2]
	v_lshlrev_b64 v[3:4], 4, v[3:4]
	s_delay_alu instid0(VALU_DEP_2) | instskip(NEXT) | instid1(VALU_DEP_3)
	v_add_co_u32 v1, vcc_lo, s12, v1
	v_add_co_ci_u32_e32 v2, vcc_lo, s13, v2, vcc_lo
	s_delay_alu instid0(VALU_DEP_3) | instskip(NEXT) | instid1(VALU_DEP_4)
	v_add_co_u32 v5, vcc_lo, s8, v3
	v_add_co_ci_u32_e32 v6, vcc_lo, s9, v4, vcc_lo
	global_load_b128 v[1:4], v[1:2], off
	global_load_b32 v10, v[5:6], off
	s_waitcnt vmcnt(1)
	v_lshlrev_b32_e32 v9, 16, v1
	s_waitcnt vmcnt(0)
	v_lshlrev_b32_e32 v11, 16, v10
	s_delay_alu instid0(VALU_DEP_1) | instskip(NEXT) | instid1(VALU_DEP_1)
	v_add_f32_e32 v11, v9, v11
	v_and_b32_e32 v9, 0x7f800000, v11
	s_delay_alu instid0(VALU_DEP_1) | instskip(SKIP_1) | instid1(SALU_CYCLE_1)
	v_cmp_ne_u32_e32 vcc_lo, 0x7f800000, v9
                                        ; implicit-def: $vgpr9
	s_and_saveexec_b32 s20, vcc_lo
	s_xor_b32 s20, exec_lo, s20
; %bb.6:                                ;   in Loop: Header=BB34_5 Depth=1
	v_bfe_u32 v9, v11, 16, 1
	s_delay_alu instid0(VALU_DEP_1)
	v_add3_u32 v9, v11, v9, 0x7fff
                                        ; implicit-def: $vgpr11
; %bb.7:                                ;   in Loop: Header=BB34_5 Depth=1
	s_and_not1_saveexec_b32 s20, s20
; %bb.8:                                ;   in Loop: Header=BB34_5 Depth=1
	v_and_b32_e32 v9, 0xffff, v11
	v_or_b32_e32 v12, 0x10000, v11
	s_delay_alu instid0(VALU_DEP_2) | instskip(NEXT) | instid1(VALU_DEP_2)
	v_cmp_eq_u32_e32 vcc_lo, 0, v9
	v_cndmask_b32_e32 v9, v12, v11, vcc_lo
; %bb.9:                                ;   in Loop: Header=BB34_5 Depth=1
	s_or_b32 exec_lo, exec_lo, s20
	v_and_b32_e32 v1, 0xffff0000, v1
	v_and_b32_e32 v10, 0xffff0000, v10
	s_delay_alu instid0(VALU_DEP_1) | instskip(NEXT) | instid1(VALU_DEP_1)
	v_add_f32_e32 v10, v1, v10
	v_and_b32_e32 v1, 0x7f800000, v10
	s_delay_alu instid0(VALU_DEP_1) | instskip(SKIP_1) | instid1(SALU_CYCLE_1)
	v_cmp_ne_u32_e32 vcc_lo, 0x7f800000, v1
                                        ; implicit-def: $vgpr1
	s_and_saveexec_b32 s20, vcc_lo
	s_xor_b32 s20, exec_lo, s20
; %bb.10:                               ;   in Loop: Header=BB34_5 Depth=1
	v_bfe_u32 v1, v10, 16, 1
	s_delay_alu instid0(VALU_DEP_1)
	v_add3_u32 v1, v10, v1, 0x7fff
                                        ; implicit-def: $vgpr10
; %bb.11:                               ;   in Loop: Header=BB34_5 Depth=1
	s_and_not1_saveexec_b32 s20, s20
; %bb.12:                               ;   in Loop: Header=BB34_5 Depth=1
	v_and_b32_e32 v1, 0xffff, v10
	v_or_b32_e32 v11, 0x10000, v10
	s_delay_alu instid0(VALU_DEP_2) | instskip(NEXT) | instid1(VALU_DEP_2)
	v_cmp_eq_u32_e32 vcc_lo, 0, v1
	v_cndmask_b32_e32 v1, v11, v10, vcc_lo
; %bb.13:                               ;   in Loop: Header=BB34_5 Depth=1
	s_or_b32 exec_lo, exec_lo, s20
	global_load_b32 v11, v[5:6], off offset:4
	v_lshlrev_b32_e32 v10, 16, v2
	s_waitcnt vmcnt(0)
	v_lshlrev_b32_e32 v12, 16, v11
	s_delay_alu instid0(VALU_DEP_1) | instskip(NEXT) | instid1(VALU_DEP_1)
	v_add_f32_e32 v12, v10, v12
	v_and_b32_e32 v10, 0x7f800000, v12
	s_delay_alu instid0(VALU_DEP_1) | instskip(SKIP_1) | instid1(SALU_CYCLE_1)
	v_cmp_ne_u32_e32 vcc_lo, 0x7f800000, v10
                                        ; implicit-def: $vgpr10
	s_and_saveexec_b32 s20, vcc_lo
	s_xor_b32 s20, exec_lo, s20
; %bb.14:                               ;   in Loop: Header=BB34_5 Depth=1
	v_bfe_u32 v10, v12, 16, 1
	s_delay_alu instid0(VALU_DEP_1)
	v_add3_u32 v10, v12, v10, 0x7fff
                                        ; implicit-def: $vgpr12
; %bb.15:                               ;   in Loop: Header=BB34_5 Depth=1
	s_and_not1_saveexec_b32 s20, s20
; %bb.16:                               ;   in Loop: Header=BB34_5 Depth=1
	v_and_b32_e32 v10, 0xffff, v12
	v_or_b32_e32 v13, 0x10000, v12
	s_delay_alu instid0(VALU_DEP_2) | instskip(NEXT) | instid1(VALU_DEP_2)
	v_cmp_eq_u32_e32 vcc_lo, 0, v10
	v_cndmask_b32_e32 v10, v13, v12, vcc_lo
; %bb.17:                               ;   in Loop: Header=BB34_5 Depth=1
	s_or_b32 exec_lo, exec_lo, s20
	v_and_b32_e32 v2, 0xffff0000, v2
	v_and_b32_e32 v11, 0xffff0000, v11
	s_delay_alu instid0(VALU_DEP_1) | instskip(NEXT) | instid1(VALU_DEP_1)
	v_add_f32_e32 v11, v2, v11
	v_and_b32_e32 v2, 0x7f800000, v11
	s_delay_alu instid0(VALU_DEP_1) | instskip(SKIP_1) | instid1(SALU_CYCLE_1)
	v_cmp_ne_u32_e32 vcc_lo, 0x7f800000, v2
                                        ; implicit-def: $vgpr2
	s_and_saveexec_b32 s20, vcc_lo
	s_xor_b32 s20, exec_lo, s20
; %bb.18:                               ;   in Loop: Header=BB34_5 Depth=1
	v_bfe_u32 v2, v11, 16, 1
	s_delay_alu instid0(VALU_DEP_1)
	v_add3_u32 v2, v11, v2, 0x7fff
                                        ; implicit-def: $vgpr11
; %bb.19:                               ;   in Loop: Header=BB34_5 Depth=1
	s_and_not1_saveexec_b32 s20, s20
; %bb.20:                               ;   in Loop: Header=BB34_5 Depth=1
	v_and_b32_e32 v2, 0xffff, v11
	v_or_b32_e32 v12, 0x10000, v11
	s_delay_alu instid0(VALU_DEP_2) | instskip(NEXT) | instid1(VALU_DEP_2)
	v_cmp_eq_u32_e32 vcc_lo, 0, v2
	v_cndmask_b32_e32 v2, v12, v11, vcc_lo
; %bb.21:                               ;   in Loop: Header=BB34_5 Depth=1
	s_or_b32 exec_lo, exec_lo, s20
	global_load_b32 v12, v[5:6], off offset:8
	v_lshlrev_b32_e32 v11, 16, v3
	s_waitcnt vmcnt(0)
	v_lshlrev_b32_e32 v13, 16, v12
	s_delay_alu instid0(VALU_DEP_1) | instskip(NEXT) | instid1(VALU_DEP_1)
	v_add_f32_e32 v13, v11, v13
	v_and_b32_e32 v11, 0x7f800000, v13
	s_delay_alu instid0(VALU_DEP_1) | instskip(SKIP_1) | instid1(SALU_CYCLE_1)
	v_cmp_ne_u32_e32 vcc_lo, 0x7f800000, v11
                                        ; implicit-def: $vgpr11
	s_and_saveexec_b32 s20, vcc_lo
	s_xor_b32 s20, exec_lo, s20
; %bb.22:                               ;   in Loop: Header=BB34_5 Depth=1
	v_bfe_u32 v11, v13, 16, 1
	s_delay_alu instid0(VALU_DEP_1)
	v_add3_u32 v11, v13, v11, 0x7fff
                                        ; implicit-def: $vgpr13
; %bb.23:                               ;   in Loop: Header=BB34_5 Depth=1
	s_and_not1_saveexec_b32 s20, s20
; %bb.24:                               ;   in Loop: Header=BB34_5 Depth=1
	v_and_b32_e32 v11, 0xffff, v13
	v_or_b32_e32 v14, 0x10000, v13
	s_delay_alu instid0(VALU_DEP_2) | instskip(NEXT) | instid1(VALU_DEP_2)
	v_cmp_eq_u32_e32 vcc_lo, 0, v11
	v_cndmask_b32_e32 v11, v14, v13, vcc_lo
; %bb.25:                               ;   in Loop: Header=BB34_5 Depth=1
	s_or_b32 exec_lo, exec_lo, s20
	v_and_b32_e32 v3, 0xffff0000, v3
	v_and_b32_e32 v12, 0xffff0000, v12
	s_delay_alu instid0(VALU_DEP_1) | instskip(NEXT) | instid1(VALU_DEP_1)
	v_add_f32_e32 v12, v3, v12
	v_and_b32_e32 v3, 0x7f800000, v12
	s_delay_alu instid0(VALU_DEP_1) | instskip(SKIP_1) | instid1(SALU_CYCLE_1)
	v_cmp_ne_u32_e32 vcc_lo, 0x7f800000, v3
                                        ; implicit-def: $vgpr3
	s_and_saveexec_b32 s20, vcc_lo
	s_xor_b32 s20, exec_lo, s20
; %bb.26:                               ;   in Loop: Header=BB34_5 Depth=1
	v_bfe_u32 v3, v12, 16, 1
	s_delay_alu instid0(VALU_DEP_1)
	v_add3_u32 v3, v12, v3, 0x7fff
                                        ; implicit-def: $vgpr12
; %bb.27:                               ;   in Loop: Header=BB34_5 Depth=1
	s_and_not1_saveexec_b32 s20, s20
; %bb.28:                               ;   in Loop: Header=BB34_5 Depth=1
	v_and_b32_e32 v3, 0xffff, v12
	v_or_b32_e32 v13, 0x10000, v12
	s_delay_alu instid0(VALU_DEP_2) | instskip(NEXT) | instid1(VALU_DEP_2)
	v_cmp_eq_u32_e32 vcc_lo, 0, v3
	v_cndmask_b32_e32 v3, v13, v12, vcc_lo
; %bb.29:                               ;   in Loop: Header=BB34_5 Depth=1
	s_or_b32 exec_lo, exec_lo, s20
	global_load_b32 v13, v[5:6], off offset:12
	v_lshlrev_b32_e32 v12, 16, v4
	s_waitcnt vmcnt(0)
	v_lshlrev_b32_e32 v14, 16, v13
	s_delay_alu instid0(VALU_DEP_1) | instskip(NEXT) | instid1(VALU_DEP_1)
	v_add_f32_e32 v14, v12, v14
	v_and_b32_e32 v12, 0x7f800000, v14
	s_delay_alu instid0(VALU_DEP_1) | instskip(SKIP_1) | instid1(SALU_CYCLE_1)
	v_cmp_ne_u32_e32 vcc_lo, 0x7f800000, v12
                                        ; implicit-def: $vgpr12
	s_and_saveexec_b32 s20, vcc_lo
	s_xor_b32 s20, exec_lo, s20
; %bb.30:                               ;   in Loop: Header=BB34_5 Depth=1
	v_bfe_u32 v12, v14, 16, 1
	s_delay_alu instid0(VALU_DEP_1)
	v_add3_u32 v12, v14, v12, 0x7fff
                                        ; implicit-def: $vgpr14
; %bb.31:                               ;   in Loop: Header=BB34_5 Depth=1
	s_and_not1_saveexec_b32 s20, s20
; %bb.32:                               ;   in Loop: Header=BB34_5 Depth=1
	v_and_b32_e32 v12, 0xffff, v14
	v_or_b32_e32 v15, 0x10000, v14
	s_delay_alu instid0(VALU_DEP_2) | instskip(NEXT) | instid1(VALU_DEP_2)
	v_cmp_eq_u32_e32 vcc_lo, 0, v12
	v_cndmask_b32_e32 v12, v15, v14, vcc_lo
; %bb.33:                               ;   in Loop: Header=BB34_5 Depth=1
	s_or_b32 exec_lo, exec_lo, s20
	v_and_b32_e32 v4, 0xffff0000, v4
	v_and_b32_e32 v13, 0xffff0000, v13
	s_delay_alu instid0(VALU_DEP_1) | instskip(NEXT) | instid1(VALU_DEP_1)
	v_add_f32_e32 v13, v4, v13
	v_and_b32_e32 v4, 0x7f800000, v13
	s_delay_alu instid0(VALU_DEP_1) | instskip(SKIP_1) | instid1(SALU_CYCLE_1)
	v_cmp_ne_u32_e32 vcc_lo, 0x7f800000, v4
                                        ; implicit-def: $vgpr4
	s_and_saveexec_b32 s20, vcc_lo
	s_xor_b32 s20, exec_lo, s20
; %bb.34:                               ;   in Loop: Header=BB34_5 Depth=1
	v_bfe_u32 v4, v13, 16, 1
	s_delay_alu instid0(VALU_DEP_1)
	v_add3_u32 v4, v13, v4, 0x7fff
                                        ; implicit-def: $vgpr13
; %bb.35:                               ;   in Loop: Header=BB34_5 Depth=1
	s_and_not1_saveexec_b32 s20, s20
	s_cbranch_execz .LBB34_4
; %bb.36:                               ;   in Loop: Header=BB34_5 Depth=1
	v_and_b32_e32 v4, 0xffff, v13
	v_or_b32_e32 v14, 0x10000, v13
	s_delay_alu instid0(VALU_DEP_2) | instskip(NEXT) | instid1(VALU_DEP_2)
	v_cmp_eq_u32_e32 vcc_lo, 0, v4
	v_cndmask_b32_e32 v4, v14, v13, vcc_lo
	s_branch .LBB34_4
.LBB34_37:
	s_or_b32 exec_lo, exec_lo, s15
	v_mov_b32_e32 v9, s18
.LBB34_38:
	s_or_b32 exec_lo, exec_lo, s17
	v_mbcnt_lo_u32_b32 v1, -1, 0
	v_and_b32_e32 v3, 0x3e0, v0
	s_mov_b32 s12, exec_lo
	s_delay_alu instid0(VALU_DEP_2) | instskip(NEXT) | instid1(VALU_DEP_2)
	v_cmp_ne_u32_e32 vcc_lo, 31, v1
	v_sub_nc_u32_e64 v13, v9, v3 clamp
	v_add_nc_u32_e32 v3, 1, v1
	v_add_co_ci_u32_e32 v2, vcc_lo, 0, v1, vcc_lo
	v_cmp_gt_u32_e32 vcc_lo, 30, v1
	s_delay_alu instid0(VALU_DEP_2)
	v_lshlrev_b32_e32 v2, 2, v2
	v_cndmask_b32_e64 v5, 0, 1, vcc_lo
	v_cmp_lt_u32_e32 vcc_lo, v3, v13
	ds_bpermute_b32 v4, v2, v7
	s_waitcnt lgkmcnt(0)
	v_dual_add_f32 v6, v7, v4 :: v_dual_lshlrev_b32 v5, 1, v5
	s_delay_alu instid0(VALU_DEP_1) | instskip(NEXT) | instid1(VALU_DEP_2)
	v_add_lshl_u32 v4, v5, v1, 2
	v_cndmask_b32_e32 v7, v7, v6, vcc_lo
	v_cmp_gt_u32_e32 vcc_lo, 28, v1
	v_cndmask_b32_e64 v5, 0, 1, vcc_lo
	s_delay_alu instid0(VALU_DEP_1) | instskip(SKIP_2) | instid1(VALU_DEP_1)
	v_lshlrev_b32_e32 v8, 2, v5
	ds_bpermute_b32 v6, v4, v7
	v_add_nc_u32_e32 v5, 2, v1
	v_cmp_lt_u32_e32 vcc_lo, v5, v13
	s_waitcnt lgkmcnt(0)
	v_add_f32_e32 v10, v7, v6
	v_add_lshl_u32 v6, v8, v1, 2
	s_delay_alu instid0(VALU_DEP_2) | instskip(SKIP_4) | instid1(VALU_DEP_1)
	v_cndmask_b32_e32 v10, v7, v10, vcc_lo
	v_cmp_gt_u32_e32 vcc_lo, 24, v1
	ds_bpermute_b32 v8, v6, v10
	v_cndmask_b32_e64 v7, 0, 1, vcc_lo
	s_waitcnt lgkmcnt(0)
	v_dual_add_f32 v12, v10, v8 :: v_dual_lshlrev_b32 v11, 3, v7
	v_add_nc_u32_e32 v7, 4, v1
	s_delay_alu instid0(VALU_DEP_1) | instskip(NEXT) | instid1(VALU_DEP_3)
	v_cmp_lt_u32_e32 vcc_lo, v7, v13
	v_cndmask_b32_e32 v12, v10, v12, vcc_lo
	s_delay_alu instid0(VALU_DEP_4) | instskip(SKIP_3) | instid1(VALU_DEP_1)
	v_add_lshl_u32 v8, v11, v1, 2
	v_cmp_gt_u32_e32 vcc_lo, 16, v1
	ds_bpermute_b32 v11, v8, v12
	v_cndmask_b32_e64 v10, 0, 1, vcc_lo
	v_lshlrev_b32_e32 v14, 4, v10
	v_add_nc_u32_e32 v10, 8, v1
	s_delay_alu instid0(VALU_DEP_1) | instskip(SKIP_3) | instid1(VALU_DEP_2)
	v_cmp_lt_u32_e32 vcc_lo, v10, v13
	s_waitcnt lgkmcnt(0)
	v_add_f32_e32 v15, v12, v11
	v_add_lshl_u32 v11, v14, v1, 2
	v_cndmask_b32_e32 v14, v12, v15, vcc_lo
	ds_bpermute_b32 v15, v11, v14
	s_waitcnt lgkmcnt(0)
	v_dual_add_f32 v15, v14, v15 :: v_dual_add_nc_u32 v12, 16, v1
	s_delay_alu instid0(VALU_DEP_1) | instskip(NEXT) | instid1(VALU_DEP_2)
	v_cmp_lt_u32_e32 vcc_lo, v12, v13
	v_cndmask_b32_e32 v13, v14, v15, vcc_lo
	v_cmpx_eq_u32_e32 0, v1
	s_cbranch_execz .LBB34_40
; %bb.39:
	v_lshrrev_b32_e32 v14, 3, v0
	s_delay_alu instid0(VALU_DEP_1)
	v_and_b32_e32 v14, 0x7c, v14
	ds_store_b32 v14, v13
.LBB34_40:
	s_or_b32 exec_lo, exec_lo, s12
	s_delay_alu instid0(SALU_CYCLE_1)
	s_mov_b32 s12, exec_lo
	s_waitcnt lgkmcnt(0)
	s_waitcnt_vscnt null, 0x0
	s_barrier
	buffer_gl0_inv
	v_cmpx_gt_u32_e32 32, v0
	s_cbranch_execz .LBB34_42
; %bb.41:
	v_lshlrev_b32_e32 v1, 2, v1
	ds_load_b32 v1, v1
	s_waitcnt lgkmcnt(0)
	ds_bpermute_b32 v2, v2, v1
	s_waitcnt lgkmcnt(0)
	v_dual_add_f32 v2, v1, v2 :: v_dual_add_nc_u32 v13, 31, v9
	s_delay_alu instid0(VALU_DEP_1) | instskip(NEXT) | instid1(VALU_DEP_1)
	v_lshrrev_b32_e32 v13, 5, v13
	v_cmp_lt_u32_e32 vcc_lo, v3, v13
	s_delay_alu instid0(VALU_DEP_3) | instskip(SKIP_4) | instid1(VALU_DEP_1)
	v_cndmask_b32_e32 v1, v1, v2, vcc_lo
	v_cmp_lt_u32_e32 vcc_lo, v5, v13
	ds_bpermute_b32 v2, v4, v1
	s_waitcnt lgkmcnt(0)
	v_add_f32_e32 v2, v1, v2
	v_cndmask_b32_e32 v1, v1, v2, vcc_lo
	v_cmp_lt_u32_e32 vcc_lo, v7, v13
	ds_bpermute_b32 v2, v6, v1
	s_waitcnt lgkmcnt(0)
	v_add_f32_e32 v2, v1, v2
	s_delay_alu instid0(VALU_DEP_1) | instskip(SKIP_4) | instid1(VALU_DEP_1)
	v_cndmask_b32_e32 v1, v1, v2, vcc_lo
	v_cmp_lt_u32_e32 vcc_lo, v10, v13
	ds_bpermute_b32 v2, v8, v1
	s_waitcnt lgkmcnt(0)
	v_add_f32_e32 v2, v1, v2
	v_cndmask_b32_e32 v1, v1, v2, vcc_lo
	v_cmp_lt_u32_e32 vcc_lo, v12, v13
	ds_bpermute_b32 v2, v11, v1
	s_waitcnt lgkmcnt(0)
	v_add_f32_e32 v2, v1, v2
	s_delay_alu instid0(VALU_DEP_1)
	v_cndmask_b32_e32 v13, v1, v2, vcc_lo
.LBB34_42:
	s_or_b32 exec_lo, exec_lo, s12
	s_delay_alu instid0(SALU_CYCLE_1)
	s_mov_b32 s12, exec_lo
	v_cmpx_eq_u32_e32 0, v0
	s_cbranch_execz .LBB34_44
; %bb.43:
	v_cvt_f32_i32_e32 v1, s16
	s_load_b32 s0, s[0:1], 0x30
	s_delay_alu instid0(VALU_DEP_1) | instskip(SKIP_1) | instid1(VALU_DEP_2)
	v_div_scale_f32 v2, null, v1, v1, v13
	v_div_scale_f32 v5, vcc_lo, v13, v1, v13
	v_rcp_f32_e32 v3, v2
	s_waitcnt_depctr 0xfff
	v_fma_f32 v4, -v2, v3, 1.0
	s_delay_alu instid0(VALU_DEP_1) | instskip(NEXT) | instid1(VALU_DEP_1)
	v_fmac_f32_e32 v3, v4, v3
	v_mul_f32_e32 v4, v5, v3
	s_delay_alu instid0(VALU_DEP_1) | instskip(NEXT) | instid1(VALU_DEP_1)
	v_fma_f32 v6, -v2, v4, v5
	v_fmac_f32_e32 v4, v6, v3
	s_delay_alu instid0(VALU_DEP_1) | instskip(NEXT) | instid1(VALU_DEP_1)
	v_fma_f32 v2, -v2, v4, v5
	v_div_fmas_f32 v2, v2, v3, v4
	s_delay_alu instid0(VALU_DEP_1) | instskip(SKIP_1) | instid1(VALU_DEP_1)
	v_div_fixup_f32 v1, v2, v1, v13
	s_waitcnt lgkmcnt(0)
	v_add_f32_e32 v1, s0, v1
	s_delay_alu instid0(VALU_DEP_1) | instskip(SKIP_1) | instid1(VALU_DEP_2)
	v_mul_f32_e32 v2, 0x4b800000, v1
	v_cmp_gt_f32_e32 vcc_lo, 0x800000, v1
	v_cndmask_b32_e32 v1, v1, v2, vcc_lo
	s_delay_alu instid0(VALU_DEP_1) | instskip(SKIP_2) | instid1(VALU_DEP_1)
	v_rsq_f32_e32 v1, v1
	s_waitcnt_depctr 0xfff
	v_mul_f32_e32 v2, 0x45800000, v1
	v_dual_cndmask_b32 v1, v1, v2 :: v_dual_mov_b32 v2, 0
	ds_store_b32 v2, v1 offset:128
.LBB34_44:
	s_or_b32 exec_lo, exec_lo, s12
	s_waitcnt lgkmcnt(0)
	s_barrier
	buffer_gl0_inv
	s_and_saveexec_b32 s0, s2
	s_cbranch_execz .LBB34_239
; %bb.45:
	s_load_b32 s0, s[6:7], 0x0
	v_add_lshl_u32 v20, v0, s14, 3
	v_lshlrev_b32_e32 v21, 3, v9
	s_mov_b32 s2, 0
	v_mov_b32_e32 v11, 0
	ds_load_b32 v22, v11 offset:128
	v_mov_b32_e32 v10, v11
	s_delay_alu instid0(VALU_DEP_1) | instskip(SKIP_3) | instid1(VALU_DEP_2)
	v_lshlrev_b64 v[12:13], 4, v[9:10]
	s_waitcnt lgkmcnt(0)
	v_div_scale_f32 v1, null, s0, s0, 1.0
	v_div_scale_f32 v4, vcc_lo, 1.0, s0, 1.0
	v_rcp_f32_e32 v2, v1
	s_waitcnt_depctr 0xfff
	v_fma_f32 v3, -v1, v2, 1.0
	s_delay_alu instid0(VALU_DEP_1) | instskip(NEXT) | instid1(VALU_DEP_1)
	v_fmac_f32_e32 v2, v3, v2
	v_mul_f32_e32 v3, v4, v2
	s_delay_alu instid0(VALU_DEP_1) | instskip(NEXT) | instid1(VALU_DEP_1)
	v_fma_f32 v5, -v1, v3, v4
	v_fmac_f32_e32 v3, v5, v2
	s_delay_alu instid0(VALU_DEP_1) | instskip(SKIP_1) | instid1(VALU_DEP_2)
	v_fma_f32 v1, -v1, v3, v4
	v_lshlrev_b32_e32 v4, 4, v0
	v_div_fmas_f32 v1, v1, v2, v3
	s_delay_alu instid0(VALU_DEP_2) | instskip(NEXT) | instid1(VALU_DEP_1)
	v_add_co_u32 v2, s1, v4, s4
	v_add_co_ci_u32_e64 v3, null, 0, s5, s1
	s_delay_alu instid0(VALU_DEP_3) | instskip(NEXT) | instid1(VALU_DEP_3)
	v_div_fixup_f32 v23, v1, s0, 1.0
	v_add_co_u32 v14, vcc_lo, v2, 14
	s_delay_alu instid0(VALU_DEP_3)
	v_add_co_ci_u32_e32 v15, vcc_lo, 0, v3, vcc_lo
	s_mov_b32 s4, 0x43e00000
	s_branch .LBB34_47
.LBB34_46:                              ;   in Loop: Header=BB34_47 Depth=1
	s_or_b32 exec_lo, exec_lo, s0
	v_add_nc_u32_e32 v0, v0, v9
	v_add_co_u32 v14, s0, v14, v12
	v_add_nc_u32_e32 v20, v20, v21
	v_add_co_ci_u32_e64 v15, s0, v15, v13, s0
	s_delay_alu instid0(VALU_DEP_4) | instskip(SKIP_2) | instid1(SALU_CYCLE_1)
	v_cmp_le_i32_e32 vcc_lo, s3, v0
	global_store_b8 v[16:17], v2, off offset:7
	s_or_b32 s2, vcc_lo, s2
	s_and_not1_b32 exec_lo, exec_lo, s2
	s_cbranch_execz .LBB34_239
.LBB34_47:                              ; =>This Inner Loop Header: Depth=1
	v_add_nc_u32_e32 v1, s14, v0
	s_delay_alu instid0(VALU_DEP_1) | instskip(NEXT) | instid1(VALU_DEP_1)
	v_ashrrev_i32_e32 v2, 31, v1
	v_lshlrev_b64 v[1:2], 4, v[1:2]
	s_delay_alu instid0(VALU_DEP_1) | instskip(NEXT) | instid1(VALU_DEP_2)
	v_add_co_u32 v1, vcc_lo, s8, v1
	v_add_co_ci_u32_e32 v2, vcc_lo, s9, v2, vcc_lo
	global_load_b128 v[5:8], v[1:2], off
	global_load_b128 v[1:4], v[14:15], off offset:-14
	s_waitcnt vmcnt(1)
	v_lshlrev_b32_e32 v10, 16, v5
	s_delay_alu instid0(VALU_DEP_1) | instskip(NEXT) | instid1(VALU_DEP_1)
	v_mul_f32_e32 v10, v22, v10
	v_and_b32_e32 v16, 0x7f800000, v10
	s_delay_alu instid0(VALU_DEP_1) | instskip(SKIP_1) | instid1(SALU_CYCLE_1)
	v_cmp_ne_u32_e32 vcc_lo, 0x7f800000, v16
                                        ; implicit-def: $vgpr16
	s_and_saveexec_b32 s0, vcc_lo
	s_xor_b32 s0, exec_lo, s0
; %bb.48:                               ;   in Loop: Header=BB34_47 Depth=1
	v_bfe_u32 v16, v10, 16, 1
	s_delay_alu instid0(VALU_DEP_1)
	v_add3_u32 v16, v10, v16, 0x7fff
                                        ; implicit-def: $vgpr10
; %bb.49:                               ;   in Loop: Header=BB34_47 Depth=1
	s_and_not1_saveexec_b32 s0, s0
; %bb.50:                               ;   in Loop: Header=BB34_47 Depth=1
	v_and_b32_e32 v16, 0xffff, v10
	v_or_b32_e32 v17, 0x10000, v10
	s_delay_alu instid0(VALU_DEP_2) | instskip(NEXT) | instid1(VALU_DEP_2)
	v_cmp_eq_u32_e32 vcc_lo, 0, v16
	v_cndmask_b32_e32 v16, v17, v10, vcc_lo
; %bb.51:                               ;   in Loop: Header=BB34_47 Depth=1
	s_or_b32 exec_lo, exec_lo, s0
	s_delay_alu instid0(VALU_DEP_1) | instskip(SKIP_2) | instid1(VALU_DEP_1)
	v_and_b32_e32 v10, 0xffff0000, v16
	s_waitcnt vmcnt(0)
	v_lshlrev_b32_e32 v16, 16, v1
	v_mul_f32_e32 v10, v10, v16
	s_delay_alu instid0(VALU_DEP_1) | instskip(NEXT) | instid1(VALU_DEP_1)
	v_and_b32_e32 v16, 0x7f800000, v10
	v_cmp_ne_u32_e32 vcc_lo, 0x7f800000, v16
                                        ; implicit-def: $vgpr16
	s_and_saveexec_b32 s0, vcc_lo
	s_delay_alu instid0(SALU_CYCLE_1)
	s_xor_b32 s0, exec_lo, s0
; %bb.52:                               ;   in Loop: Header=BB34_47 Depth=1
	v_bfe_u32 v16, v10, 16, 1
	s_delay_alu instid0(VALU_DEP_1)
	v_add3_u32 v16, v10, v16, 0x7fff
                                        ; implicit-def: $vgpr10
; %bb.53:                               ;   in Loop: Header=BB34_47 Depth=1
	s_and_not1_saveexec_b32 s0, s0
; %bb.54:                               ;   in Loop: Header=BB34_47 Depth=1
	v_and_b32_e32 v16, 0xffff, v10
	v_or_b32_e32 v17, 0x10000, v10
	s_delay_alu instid0(VALU_DEP_2) | instskip(NEXT) | instid1(VALU_DEP_2)
	v_cmp_eq_u32_e32 vcc_lo, 0, v16
	v_cndmask_b32_e32 v16, v17, v10, vcc_lo
; %bb.55:                               ;   in Loop: Header=BB34_47 Depth=1
	s_or_b32 exec_lo, exec_lo, s0
	s_delay_alu instid0(VALU_DEP_1) | instskip(SKIP_1) | instid1(VALU_DEP_1)
	v_dual_mov_b32 v25, v11 :: v_dual_and_b32 v10, 0xffff0000, v16
	s_mov_b32 s0, exec_lo
	v_mul_f32_e32 v10, v23, v10
	s_delay_alu instid0(VALU_DEP_1) | instskip(NEXT) | instid1(VALU_DEP_1)
	v_minmax_f32 v16, v10, s4, 0xc3e00000
	v_lshrrev_b32_e32 v17, 24, v16
	v_and_b32_e32 v24, 0x7f800000, v16
	v_and_b32_e32 v10, 0x7fffff, v16
	s_delay_alu instid0(VALU_DEP_3) | instskip(NEXT) | instid1(VALU_DEP_1)
	v_and_b32_e32 v18, 0x80, v17
	v_or_b32_e32 v19, 0x7e, v18
	s_delay_alu instid0(VALU_DEP_4)
	v_cmpx_ne_u64_e32 0x7f800000, v[24:25]
	s_xor_b32 s5, exec_lo, s0
	s_cbranch_execz .LBB34_69
; %bb.56:                               ;   in Loop: Header=BB34_47 Depth=1
	v_dual_mov_b32 v25, v11 :: v_dual_and_b32 v24, 0x7fffffff, v16
	s_mov_b32 s0, exec_lo
	s_delay_alu instid0(VALU_DEP_1)
	v_cmpx_gt_u64_e32 0x43e00001, v[24:25]
	s_xor_b32 s6, exec_lo, s0
	s_cbranch_execz .LBB34_68
; %bb.57:                               ;   in Loop: Header=BB34_47 Depth=1
	v_mov_b32_e32 v19, 0
	s_mov_b32 s7, exec_lo
	v_cmpx_ne_u32_e32 0, v16
	s_cbranch_execz .LBB34_67
; %bb.58:                               ;   in Loop: Header=BB34_47 Depth=1
	v_bfe_u32 v19, v16, 23, 8
	s_delay_alu instid0(VALU_DEP_1) | instskip(SKIP_2) | instid1(VALU_DEP_3)
	v_sub_nc_u32_e64 v16, 0x79, v19 clamp
	v_cmp_eq_u32_e32 vcc_lo, 0, v19
	v_add_nc_u32_e32 v19, 0xffffff88, v19
	v_cndmask_b32_e64 v24, v16, 0x78, vcc_lo
	v_or_b32_e32 v16, 0x800000, v10
	s_delay_alu instid0(VALU_DEP_1) | instskip(SKIP_1) | instid1(VALU_DEP_2)
	v_dual_cndmask_b32 v10, v16, v10 :: v_dual_add_nc_u32 v17, 20, v24
	v_add_nc_u32_e32 v27, 19, v24
	v_lshlrev_b64 v[16:17], v17, -1
	s_delay_alu instid0(VALU_DEP_3) | instskip(NEXT) | instid1(VALU_DEP_2)
	v_lshrrev_b64 v[25:26], v24, v[10:11]
	v_not_b32_e32 v28, v17
	s_delay_alu instid0(VALU_DEP_3) | instskip(SKIP_1) | instid1(VALU_DEP_3)
	v_not_b32_e32 v29, v16
	v_lshlrev_b64 v[16:17], v27, 1
	v_and_b32_e32 v28, 0, v28
	s_delay_alu instid0(VALU_DEP_3) | instskip(SKIP_1) | instid1(VALU_DEP_2)
	v_and_b32_e32 v27, v10, v29
	v_and_b32_e32 v10, 0x100000, v25
	v_cmp_eq_u64_e64 s0, v[27:28], v[16:17]
	s_delay_alu instid0(VALU_DEP_2) | instskip(SKIP_2) | instid1(VALU_DEP_3)
	v_cmp_eq_u64_e64 s1, 0, v[10:11]
	v_cndmask_b32_e64 v10, v19, 0xffffff89, vcc_lo
	v_lshrrev_b32_e32 v16, 23, v25
	s_and_b32 vcc_lo, s1, s0
	s_delay_alu instid0(VALU_DEP_1) | instskip(SKIP_2) | instid1(VALU_DEP_2)
	v_add3_u32 v19, v10, v24, v16
	v_subrev_co_ci_u32_e32 v17, vcc_lo, 0, v25, vcc_lo
	s_mov_b32 s0, exec_lo
	v_add_nc_u32_e32 v24, -1, v19
	s_delay_alu instid0(VALU_DEP_2) | instskip(NEXT) | instid1(VALU_DEP_1)
	v_and_b32_e32 v10, 0xfffff, v17
	v_add_co_u32 v16, vcc_lo, v10, v25
	v_add_co_ci_u32_e32 v17, vcc_lo, 0, v26, vcc_lo
                                        ; implicit-def: $vgpr10
	s_delay_alu instid0(VALU_DEP_4)
	v_cmpx_ne_u32_e32 0, v24
	s_xor_b32 s0, exec_lo, s0
; %bb.59:                               ;   in Loop: Header=BB34_47 Depth=1
	s_delay_alu instid0(VALU_DEP_3) | instskip(SKIP_1) | instid1(VALU_DEP_2)
	v_and_b32_e32 v10, 0x1000000, v16
	v_bfe_u32 v25, v16, 24, 1
	v_cmp_eq_u64_e32 vcc_lo, 0, v[10:11]
	s_delay_alu instid0(VALU_DEP_2)
	v_lshrrev_b64 v[16:17], v25, v[16:17]
	v_cndmask_b32_e32 v10, v19, v24, vcc_lo
; %bb.60:                               ;   in Loop: Header=BB34_47 Depth=1
	s_and_not1_saveexec_b32 s0, s0
; %bb.61:                               ;   in Loop: Header=BB34_47 Depth=1
	s_delay_alu instid0(VALU_DEP_2)
	v_bfe_u32 v10, v16, 23, 1
; %bb.62:                               ;   in Loop: Header=BB34_47 Depth=1
	s_or_b32 exec_lo, exec_lo, s0
	s_delay_alu instid0(VALU_DEP_3) | instskip(NEXT) | instid1(VALU_DEP_2)
	v_lshrrev_b64 v[16:17], 20, v[16:17]
	v_cmp_gt_i32_e32 vcc_lo, 16, v10
	v_cmp_ne_u32_e64 s0, 0, v10
                                        ; implicit-def: $vgpr19
	s_delay_alu instid0(VALU_DEP_3) | instskip(NEXT) | instid1(VALU_DEP_1)
	v_dual_cndmask_b32 v17, 0, v17 :: v_dual_cndmask_b32 v16, 7, v16
	v_cmp_ne_u64_e32 vcc_lo, 0, v[16:17]
	s_delay_alu instid0(VALU_DEP_3) | instskip(NEXT) | instid1(SALU_CYCLE_1)
	s_or_b32 s0, s0, vcc_lo
	s_and_saveexec_b32 s1, s0
	s_delay_alu instid0(SALU_CYCLE_1)
	s_xor_b32 s0, exec_lo, s1
; %bb.63:                               ;   in Loop: Header=BB34_47 Depth=1
	v_min_i32_e32 v10, 15, v10
	s_delay_alu instid0(VALU_DEP_1) | instskip(NEXT) | instid1(VALU_DEP_1)
	v_lshl_or_b32 v10, v10, 3, v18
                                        ; implicit-def: $vgpr18
	v_and_or_b32 v19, v16, 7, v10
; %bb.64:                               ;   in Loop: Header=BB34_47 Depth=1
	s_and_not1_saveexec_b32 s0, s0
; %bb.65:                               ;   in Loop: Header=BB34_47 Depth=1
	v_mov_b32_e32 v19, v18
; %bb.66:                               ;   in Loop: Header=BB34_47 Depth=1
	s_or_b32 exec_lo, exec_lo, s0
.LBB34_67:                              ;   in Loop: Header=BB34_47 Depth=1
	s_delay_alu instid0(SALU_CYCLE_1)
	s_or_b32 exec_lo, exec_lo, s7
.LBB34_68:                              ;   in Loop: Header=BB34_47 Depth=1
	s_and_not1_saveexec_b32 s0, s6
	s_delay_alu instid0(SALU_CYCLE_1)
	s_or_b32 exec_lo, exec_lo, s0
                                        ; implicit-def: $vgpr17
.LBB34_69:                              ;   in Loop: Header=BB34_47 Depth=1
	s_and_not1_saveexec_b32 s0, s5
; %bb.70:                               ;   in Loop: Header=BB34_47 Depth=1
	v_cmp_eq_u64_e32 vcc_lo, 0, v[10:11]
	v_or_b32_e32 v16, 0x7f, v17
	s_delay_alu instid0(VALU_DEP_1)
	v_cndmask_b32_e32 v19, v16, v19, vcc_lo
; %bb.71:                               ;   in Loop: Header=BB34_47 Depth=1
	s_or_b32 exec_lo, exec_lo, s0
	v_and_b32_e32 v5, 0xffff0000, v5
	v_ashrrev_i32_e32 v10, 31, v20
	v_add_co_u32 v16, vcc_lo, s10, v20
	s_mov_b32 s0, exec_lo
	s_delay_alu instid0(VALU_DEP_3) | instskip(NEXT) | instid1(VALU_DEP_3)
	v_mul_f32_e32 v5, v22, v5
	v_add_co_ci_u32_e32 v17, vcc_lo, s11, v10, vcc_lo
                                        ; implicit-def: $vgpr10
	s_delay_alu instid0(VALU_DEP_2)
	v_and_b32_e32 v18, 0x7f800000, v5
	global_store_b8 v[16:17], v19, off
	v_cmpx_ne_u32_e32 0x7f800000, v18
	s_xor_b32 s0, exec_lo, s0
; %bb.72:                               ;   in Loop: Header=BB34_47 Depth=1
	v_bfe_u32 v10, v5, 16, 1
	s_delay_alu instid0(VALU_DEP_1)
	v_add3_u32 v10, v5, v10, 0x7fff
                                        ; implicit-def: $vgpr5
; %bb.73:                               ;   in Loop: Header=BB34_47 Depth=1
	s_and_not1_saveexec_b32 s0, s0
; %bb.74:                               ;   in Loop: Header=BB34_47 Depth=1
	v_and_b32_e32 v10, 0xffff, v5
	v_or_b32_e32 v18, 0x10000, v5
	s_delay_alu instid0(VALU_DEP_2) | instskip(NEXT) | instid1(VALU_DEP_2)
	v_cmp_eq_u32_e32 vcc_lo, 0, v10
	v_cndmask_b32_e32 v10, v18, v5, vcc_lo
; %bb.75:                               ;   in Loop: Header=BB34_47 Depth=1
	s_or_b32 exec_lo, exec_lo, s0
	s_delay_alu instid0(VALU_DEP_1) | instskip(SKIP_1) | instid1(VALU_DEP_1)
	v_and_b32_e32 v5, 0xffff0000, v10
	v_and_b32_e32 v1, 0xffff0000, v1
	v_mul_f32_e32 v1, v5, v1
	s_delay_alu instid0(VALU_DEP_1) | instskip(NEXT) | instid1(VALU_DEP_1)
	v_and_b32_e32 v5, 0x7f800000, v1
	v_cmp_ne_u32_e32 vcc_lo, 0x7f800000, v5
                                        ; implicit-def: $vgpr5
	s_and_saveexec_b32 s0, vcc_lo
	s_delay_alu instid0(SALU_CYCLE_1)
	s_xor_b32 s0, exec_lo, s0
; %bb.76:                               ;   in Loop: Header=BB34_47 Depth=1
	v_bfe_u32 v5, v1, 16, 1
	s_delay_alu instid0(VALU_DEP_1)
	v_add3_u32 v5, v1, v5, 0x7fff
                                        ; implicit-def: $vgpr1
; %bb.77:                               ;   in Loop: Header=BB34_47 Depth=1
	s_and_not1_saveexec_b32 s0, s0
; %bb.78:                               ;   in Loop: Header=BB34_47 Depth=1
	v_and_b32_e32 v5, 0xffff, v1
	v_or_b32_e32 v10, 0x10000, v1
	s_delay_alu instid0(VALU_DEP_2) | instskip(NEXT) | instid1(VALU_DEP_2)
	v_cmp_eq_u32_e32 vcc_lo, 0, v5
	v_cndmask_b32_e32 v5, v10, v1, vcc_lo
; %bb.79:                               ;   in Loop: Header=BB34_47 Depth=1
	s_or_b32 exec_lo, exec_lo, s0
	s_delay_alu instid0(VALU_DEP_1) | instskip(SKIP_1) | instid1(VALU_DEP_1)
	v_and_b32_e32 v1, 0xffff0000, v5
	s_mov_b32 s0, exec_lo
	v_mul_f32_e32 v1, v23, v1
	s_delay_alu instid0(VALU_DEP_1) | instskip(NEXT) | instid1(VALU_DEP_1)
	v_minmax_f32 v18, v1, s4, 0xc3e00000
	v_dual_mov_b32 v25, v11 :: v_dual_and_b32 v10, 0x7fffff, v18
	v_lshrrev_b32_e32 v19, 24, v18
	v_and_b32_e32 v24, 0x7f800000, v18
	s_delay_alu instid0(VALU_DEP_2) | instskip(NEXT) | instid1(VALU_DEP_1)
	v_and_b32_e32 v1, 0x80, v19
	v_or_b32_e32 v5, 0x7e, v1
	s_delay_alu instid0(VALU_DEP_3)
	v_cmpx_ne_u64_e32 0x7f800000, v[24:25]
	s_xor_b32 s5, exec_lo, s0
	s_cbranch_execz .LBB34_93
; %bb.80:                               ;   in Loop: Header=BB34_47 Depth=1
	v_dual_mov_b32 v25, v11 :: v_dual_and_b32 v24, 0x7fffffff, v18
	s_mov_b32 s0, exec_lo
	s_delay_alu instid0(VALU_DEP_1)
	v_cmpx_gt_u64_e32 0x43e00001, v[24:25]
	s_xor_b32 s6, exec_lo, s0
	s_cbranch_execz .LBB34_92
; %bb.81:                               ;   in Loop: Header=BB34_47 Depth=1
	v_mov_b32_e32 v5, 0
	s_mov_b32 s7, exec_lo
	v_cmpx_ne_u32_e32 0, v18
	s_cbranch_execz .LBB34_91
; %bb.82:                               ;   in Loop: Header=BB34_47 Depth=1
	v_bfe_u32 v5, v18, 23, 8
	s_delay_alu instid0(VALU_DEP_1) | instskip(SKIP_2) | instid1(VALU_DEP_3)
	v_sub_nc_u32_e64 v18, 0x79, v5 clamp
	v_cmp_eq_u32_e32 vcc_lo, 0, v5
	v_add_nc_u32_e32 v5, 0xffffff88, v5
	v_cndmask_b32_e64 v24, v18, 0x78, vcc_lo
	v_or_b32_e32 v18, 0x800000, v10
	s_delay_alu instid0(VALU_DEP_3) | instskip(NEXT) | instid1(VALU_DEP_2)
	v_cndmask_b32_e64 v5, v5, 0xffffff89, vcc_lo
	v_dual_cndmask_b32 v10, v18, v10 :: v_dual_add_nc_u32 v19, 20, v24
	v_add_nc_u32_e32 v27, 19, v24
	s_delay_alu instid0(VALU_DEP_2) | instskip(NEXT) | instid1(VALU_DEP_3)
	v_lshlrev_b64 v[18:19], v19, -1
	v_lshrrev_b64 v[25:26], v24, v[10:11]
	s_delay_alu instid0(VALU_DEP_2) | instskip(NEXT) | instid1(VALU_DEP_3)
	v_not_b32_e32 v28, v19
	v_not_b32_e32 v29, v18
	v_lshlrev_b64 v[18:19], v27, 1
	s_delay_alu instid0(VALU_DEP_3) | instskip(NEXT) | instid1(VALU_DEP_3)
	v_and_b32_e32 v28, 0, v28
	v_and_b32_e32 v27, v10, v29
	;; [unrolled: 1-line block ×3, first 2 shown]
	s_delay_alu instid0(VALU_DEP_2) | instskip(NEXT) | instid1(VALU_DEP_2)
	v_cmp_eq_u64_e64 s0, v[27:28], v[18:19]
	v_cmp_eq_u64_e64 s1, 0, v[10:11]
	v_lshrrev_b32_e32 v10, 23, v25
	s_delay_alu instid0(VALU_DEP_1) | instskip(NEXT) | instid1(VALU_DEP_3)
	v_add3_u32 v5, v5, v24, v10
	s_and_b32 vcc_lo, s1, s0
	s_mov_b32 s0, exec_lo
	v_subrev_co_ci_u32_e32 v18, vcc_lo, 0, v25, vcc_lo
	s_delay_alu instid0(VALU_DEP_2) | instskip(NEXT) | instid1(VALU_DEP_2)
	v_add_nc_u32_e32 v24, -1, v5
	v_and_b32_e32 v10, 0xfffff, v18
	s_delay_alu instid0(VALU_DEP_1) | instskip(SKIP_1) | instid1(VALU_DEP_4)
	v_add_co_u32 v18, vcc_lo, v10, v25
	v_add_co_ci_u32_e32 v19, vcc_lo, 0, v26, vcc_lo
                                        ; implicit-def: $vgpr10
	v_cmpx_ne_u32_e32 0, v24
	s_xor_b32 s0, exec_lo, s0
; %bb.83:                               ;   in Loop: Header=BB34_47 Depth=1
	s_delay_alu instid0(VALU_DEP_3) | instskip(SKIP_1) | instid1(VALU_DEP_2)
	v_and_b32_e32 v10, 0x1000000, v18
	v_bfe_u32 v25, v18, 24, 1
	v_cmp_eq_u64_e32 vcc_lo, 0, v[10:11]
	s_delay_alu instid0(VALU_DEP_2)
	v_lshrrev_b64 v[18:19], v25, v[18:19]
	v_cndmask_b32_e32 v10, v5, v24, vcc_lo
; %bb.84:                               ;   in Loop: Header=BB34_47 Depth=1
	s_and_not1_saveexec_b32 s0, s0
; %bb.85:                               ;   in Loop: Header=BB34_47 Depth=1
	s_delay_alu instid0(VALU_DEP_2)
	v_bfe_u32 v10, v18, 23, 1
; %bb.86:                               ;   in Loop: Header=BB34_47 Depth=1
	s_or_b32 exec_lo, exec_lo, s0
	s_delay_alu instid0(VALU_DEP_3) | instskip(NEXT) | instid1(VALU_DEP_2)
	v_lshrrev_b64 v[18:19], 20, v[18:19]
	v_cmp_gt_i32_e32 vcc_lo, 16, v10
	v_cmp_ne_u32_e64 s0, 0, v10
                                        ; implicit-def: $vgpr5
	s_delay_alu instid0(VALU_DEP_3) | instskip(NEXT) | instid1(VALU_DEP_1)
	v_dual_cndmask_b32 v19, 0, v19 :: v_dual_cndmask_b32 v18, 7, v18
	v_cmp_ne_u64_e32 vcc_lo, 0, v[18:19]
	s_delay_alu instid0(VALU_DEP_3) | instskip(NEXT) | instid1(SALU_CYCLE_1)
	s_or_b32 s0, s0, vcc_lo
	s_and_saveexec_b32 s1, s0
	s_delay_alu instid0(SALU_CYCLE_1)
	s_xor_b32 s0, exec_lo, s1
; %bb.87:                               ;   in Loop: Header=BB34_47 Depth=1
	v_min_i32_e32 v5, 15, v10
	s_delay_alu instid0(VALU_DEP_1) | instskip(NEXT) | instid1(VALU_DEP_1)
	v_lshl_or_b32 v1, v5, 3, v1
	v_and_or_b32 v5, v18, 7, v1
                                        ; implicit-def: $vgpr1
; %bb.88:                               ;   in Loop: Header=BB34_47 Depth=1
	s_and_not1_saveexec_b32 s0, s0
; %bb.89:                               ;   in Loop: Header=BB34_47 Depth=1
	v_mov_b32_e32 v5, v1
; %bb.90:                               ;   in Loop: Header=BB34_47 Depth=1
	s_or_b32 exec_lo, exec_lo, s0
.LBB34_91:                              ;   in Loop: Header=BB34_47 Depth=1
	s_delay_alu instid0(SALU_CYCLE_1)
	s_or_b32 exec_lo, exec_lo, s7
.LBB34_92:                              ;   in Loop: Header=BB34_47 Depth=1
	s_and_not1_saveexec_b32 s0, s6
	s_delay_alu instid0(SALU_CYCLE_1)
	s_or_b32 exec_lo, exec_lo, s0
                                        ; implicit-def: $vgpr19
.LBB34_93:                              ;   in Loop: Header=BB34_47 Depth=1
	s_and_not1_saveexec_b32 s0, s5
; %bb.94:                               ;   in Loop: Header=BB34_47 Depth=1
	v_cmp_eq_u64_e32 vcc_lo, 0, v[10:11]
	v_or_b32_e32 v1, 0x7f, v19
	s_delay_alu instid0(VALU_DEP_1)
	v_cndmask_b32_e32 v5, v1, v5, vcc_lo
; %bb.95:                               ;   in Loop: Header=BB34_47 Depth=1
	s_or_b32 exec_lo, exec_lo, s0
	v_lshlrev_b32_e32 v1, 16, v6
	s_mov_b32 s0, exec_lo
	global_store_b8 v[16:17], v5, off offset:1
                                        ; implicit-def: $vgpr5
	v_mul_f32_e32 v1, v22, v1
	s_delay_alu instid0(VALU_DEP_1) | instskip(NEXT) | instid1(VALU_DEP_1)
	v_and_b32_e32 v10, 0x7f800000, v1
	v_cmpx_ne_u32_e32 0x7f800000, v10
	s_xor_b32 s0, exec_lo, s0
; %bb.96:                               ;   in Loop: Header=BB34_47 Depth=1
	v_bfe_u32 v5, v1, 16, 1
	s_delay_alu instid0(VALU_DEP_1)
	v_add3_u32 v5, v1, v5, 0x7fff
                                        ; implicit-def: $vgpr1
; %bb.97:                               ;   in Loop: Header=BB34_47 Depth=1
	s_and_not1_saveexec_b32 s0, s0
; %bb.98:                               ;   in Loop: Header=BB34_47 Depth=1
	v_and_b32_e32 v5, 0xffff, v1
	v_or_b32_e32 v10, 0x10000, v1
	s_delay_alu instid0(VALU_DEP_2) | instskip(NEXT) | instid1(VALU_DEP_2)
	v_cmp_eq_u32_e32 vcc_lo, 0, v5
	v_cndmask_b32_e32 v5, v10, v1, vcc_lo
; %bb.99:                               ;   in Loop: Header=BB34_47 Depth=1
	s_or_b32 exec_lo, exec_lo, s0
	s_delay_alu instid0(VALU_DEP_1) | instskip(SKIP_1) | instid1(VALU_DEP_1)
	v_and_b32_e32 v1, 0xffff0000, v5
	v_lshlrev_b32_e32 v5, 16, v2
	v_mul_f32_e32 v1, v1, v5
	s_delay_alu instid0(VALU_DEP_1) | instskip(NEXT) | instid1(VALU_DEP_1)
	v_and_b32_e32 v5, 0x7f800000, v1
	v_cmp_ne_u32_e32 vcc_lo, 0x7f800000, v5
                                        ; implicit-def: $vgpr5
	s_and_saveexec_b32 s0, vcc_lo
	s_delay_alu instid0(SALU_CYCLE_1)
	s_xor_b32 s0, exec_lo, s0
; %bb.100:                              ;   in Loop: Header=BB34_47 Depth=1
	v_bfe_u32 v5, v1, 16, 1
	s_delay_alu instid0(VALU_DEP_1)
	v_add3_u32 v5, v1, v5, 0x7fff
                                        ; implicit-def: $vgpr1
; %bb.101:                              ;   in Loop: Header=BB34_47 Depth=1
	s_and_not1_saveexec_b32 s0, s0
; %bb.102:                              ;   in Loop: Header=BB34_47 Depth=1
	v_and_b32_e32 v5, 0xffff, v1
	v_or_b32_e32 v10, 0x10000, v1
	s_delay_alu instid0(VALU_DEP_2) | instskip(NEXT) | instid1(VALU_DEP_2)
	v_cmp_eq_u32_e32 vcc_lo, 0, v5
	v_cndmask_b32_e32 v5, v10, v1, vcc_lo
; %bb.103:                              ;   in Loop: Header=BB34_47 Depth=1
	s_or_b32 exec_lo, exec_lo, s0
	s_delay_alu instid0(VALU_DEP_1) | instskip(SKIP_1) | instid1(VALU_DEP_1)
	v_and_b32_e32 v1, 0xffff0000, v5
	s_mov_b32 s0, exec_lo
	v_mul_f32_e32 v1, v23, v1
	s_delay_alu instid0(VALU_DEP_1) | instskip(NEXT) | instid1(VALU_DEP_1)
	v_minmax_f32 v18, v1, s4, 0xc3e00000
	v_dual_mov_b32 v25, v11 :: v_dual_and_b32 v10, 0x7fffff, v18
	v_lshrrev_b32_e32 v19, 24, v18
	v_and_b32_e32 v24, 0x7f800000, v18
	s_delay_alu instid0(VALU_DEP_2) | instskip(NEXT) | instid1(VALU_DEP_1)
	v_and_b32_e32 v1, 0x80, v19
	v_or_b32_e32 v5, 0x7e, v1
	s_delay_alu instid0(VALU_DEP_3)
	v_cmpx_ne_u64_e32 0x7f800000, v[24:25]
	s_xor_b32 s5, exec_lo, s0
	s_cbranch_execz .LBB34_117
; %bb.104:                              ;   in Loop: Header=BB34_47 Depth=1
	v_dual_mov_b32 v25, v11 :: v_dual_and_b32 v24, 0x7fffffff, v18
	s_mov_b32 s0, exec_lo
	s_delay_alu instid0(VALU_DEP_1)
	v_cmpx_gt_u64_e32 0x43e00001, v[24:25]
	s_xor_b32 s6, exec_lo, s0
	s_cbranch_execz .LBB34_116
; %bb.105:                              ;   in Loop: Header=BB34_47 Depth=1
	v_mov_b32_e32 v5, 0
	s_mov_b32 s7, exec_lo
	v_cmpx_ne_u32_e32 0, v18
	s_cbranch_execz .LBB34_115
; %bb.106:                              ;   in Loop: Header=BB34_47 Depth=1
	v_bfe_u32 v5, v18, 23, 8
	s_delay_alu instid0(VALU_DEP_1) | instskip(SKIP_2) | instid1(VALU_DEP_3)
	v_sub_nc_u32_e64 v18, 0x79, v5 clamp
	v_cmp_eq_u32_e32 vcc_lo, 0, v5
	v_add_nc_u32_e32 v5, 0xffffff88, v5
	v_cndmask_b32_e64 v24, v18, 0x78, vcc_lo
	v_or_b32_e32 v18, 0x800000, v10
	s_delay_alu instid0(VALU_DEP_3) | instskip(NEXT) | instid1(VALU_DEP_2)
	v_cndmask_b32_e64 v5, v5, 0xffffff89, vcc_lo
	v_dual_cndmask_b32 v10, v18, v10 :: v_dual_add_nc_u32 v19, 20, v24
	v_add_nc_u32_e32 v27, 19, v24
	s_delay_alu instid0(VALU_DEP_2) | instskip(NEXT) | instid1(VALU_DEP_3)
	v_lshlrev_b64 v[18:19], v19, -1
	v_lshrrev_b64 v[25:26], v24, v[10:11]
	s_delay_alu instid0(VALU_DEP_2) | instskip(NEXT) | instid1(VALU_DEP_3)
	v_not_b32_e32 v28, v19
	v_not_b32_e32 v29, v18
	v_lshlrev_b64 v[18:19], v27, 1
	s_delay_alu instid0(VALU_DEP_3) | instskip(NEXT) | instid1(VALU_DEP_3)
	v_and_b32_e32 v28, 0, v28
	v_and_b32_e32 v27, v10, v29
	;; [unrolled: 1-line block ×3, first 2 shown]
	s_delay_alu instid0(VALU_DEP_2) | instskip(NEXT) | instid1(VALU_DEP_2)
	v_cmp_eq_u64_e64 s0, v[27:28], v[18:19]
	v_cmp_eq_u64_e64 s1, 0, v[10:11]
	v_lshrrev_b32_e32 v10, 23, v25
	s_delay_alu instid0(VALU_DEP_1) | instskip(NEXT) | instid1(VALU_DEP_3)
	v_add3_u32 v5, v5, v24, v10
	s_and_b32 vcc_lo, s1, s0
	s_mov_b32 s0, exec_lo
	v_subrev_co_ci_u32_e32 v18, vcc_lo, 0, v25, vcc_lo
	s_delay_alu instid0(VALU_DEP_2) | instskip(NEXT) | instid1(VALU_DEP_2)
	v_add_nc_u32_e32 v24, -1, v5
	v_and_b32_e32 v10, 0xfffff, v18
	s_delay_alu instid0(VALU_DEP_1) | instskip(SKIP_1) | instid1(VALU_DEP_4)
	v_add_co_u32 v18, vcc_lo, v10, v25
	v_add_co_ci_u32_e32 v19, vcc_lo, 0, v26, vcc_lo
                                        ; implicit-def: $vgpr10
	v_cmpx_ne_u32_e32 0, v24
	s_xor_b32 s0, exec_lo, s0
; %bb.107:                              ;   in Loop: Header=BB34_47 Depth=1
	s_delay_alu instid0(VALU_DEP_3) | instskip(SKIP_1) | instid1(VALU_DEP_2)
	v_and_b32_e32 v10, 0x1000000, v18
	v_bfe_u32 v25, v18, 24, 1
	v_cmp_eq_u64_e32 vcc_lo, 0, v[10:11]
	s_delay_alu instid0(VALU_DEP_2)
	v_lshrrev_b64 v[18:19], v25, v[18:19]
	v_cndmask_b32_e32 v10, v5, v24, vcc_lo
; %bb.108:                              ;   in Loop: Header=BB34_47 Depth=1
	s_and_not1_saveexec_b32 s0, s0
; %bb.109:                              ;   in Loop: Header=BB34_47 Depth=1
	s_delay_alu instid0(VALU_DEP_2)
	v_bfe_u32 v10, v18, 23, 1
; %bb.110:                              ;   in Loop: Header=BB34_47 Depth=1
	s_or_b32 exec_lo, exec_lo, s0
	s_delay_alu instid0(VALU_DEP_3) | instskip(NEXT) | instid1(VALU_DEP_2)
	v_lshrrev_b64 v[18:19], 20, v[18:19]
	v_cmp_gt_i32_e32 vcc_lo, 16, v10
	v_cmp_ne_u32_e64 s0, 0, v10
                                        ; implicit-def: $vgpr5
	s_delay_alu instid0(VALU_DEP_3) | instskip(NEXT) | instid1(VALU_DEP_1)
	v_dual_cndmask_b32 v19, 0, v19 :: v_dual_cndmask_b32 v18, 7, v18
	v_cmp_ne_u64_e32 vcc_lo, 0, v[18:19]
	s_delay_alu instid0(VALU_DEP_3) | instskip(NEXT) | instid1(SALU_CYCLE_1)
	s_or_b32 s0, s0, vcc_lo
	s_and_saveexec_b32 s1, s0
	s_delay_alu instid0(SALU_CYCLE_1)
	s_xor_b32 s0, exec_lo, s1
; %bb.111:                              ;   in Loop: Header=BB34_47 Depth=1
	v_min_i32_e32 v5, 15, v10
	s_delay_alu instid0(VALU_DEP_1) | instskip(NEXT) | instid1(VALU_DEP_1)
	v_lshl_or_b32 v1, v5, 3, v1
	v_and_or_b32 v5, v18, 7, v1
                                        ; implicit-def: $vgpr1
; %bb.112:                              ;   in Loop: Header=BB34_47 Depth=1
	s_and_not1_saveexec_b32 s0, s0
; %bb.113:                              ;   in Loop: Header=BB34_47 Depth=1
	v_mov_b32_e32 v5, v1
; %bb.114:                              ;   in Loop: Header=BB34_47 Depth=1
	s_or_b32 exec_lo, exec_lo, s0
.LBB34_115:                             ;   in Loop: Header=BB34_47 Depth=1
	s_delay_alu instid0(SALU_CYCLE_1)
	s_or_b32 exec_lo, exec_lo, s7
.LBB34_116:                             ;   in Loop: Header=BB34_47 Depth=1
	s_and_not1_saveexec_b32 s0, s6
	s_delay_alu instid0(SALU_CYCLE_1)
	s_or_b32 exec_lo, exec_lo, s0
                                        ; implicit-def: $vgpr19
.LBB34_117:                             ;   in Loop: Header=BB34_47 Depth=1
	s_and_not1_saveexec_b32 s0, s5
; %bb.118:                              ;   in Loop: Header=BB34_47 Depth=1
	v_cmp_eq_u64_e32 vcc_lo, 0, v[10:11]
	v_or_b32_e32 v1, 0x7f, v19
	s_delay_alu instid0(VALU_DEP_1)
	v_cndmask_b32_e32 v5, v1, v5, vcc_lo
; %bb.119:                              ;   in Loop: Header=BB34_47 Depth=1
	s_or_b32 exec_lo, exec_lo, s0
	v_and_b32_e32 v1, 0xffff0000, v6
	s_mov_b32 s0, exec_lo
	global_store_b8 v[16:17], v5, off offset:2
                                        ; implicit-def: $vgpr5
	v_mul_f32_e32 v1, v22, v1
	s_delay_alu instid0(VALU_DEP_1) | instskip(NEXT) | instid1(VALU_DEP_1)
	v_and_b32_e32 v6, 0x7f800000, v1
	v_cmpx_ne_u32_e32 0x7f800000, v6
	s_xor_b32 s0, exec_lo, s0
; %bb.120:                              ;   in Loop: Header=BB34_47 Depth=1
	v_bfe_u32 v5, v1, 16, 1
	s_delay_alu instid0(VALU_DEP_1)
	v_add3_u32 v5, v1, v5, 0x7fff
                                        ; implicit-def: $vgpr1
; %bb.121:                              ;   in Loop: Header=BB34_47 Depth=1
	s_and_not1_saveexec_b32 s0, s0
; %bb.122:                              ;   in Loop: Header=BB34_47 Depth=1
	v_and_b32_e32 v5, 0xffff, v1
	v_or_b32_e32 v6, 0x10000, v1
	s_delay_alu instid0(VALU_DEP_2) | instskip(NEXT) | instid1(VALU_DEP_2)
	v_cmp_eq_u32_e32 vcc_lo, 0, v5
	v_cndmask_b32_e32 v5, v6, v1, vcc_lo
; %bb.123:                              ;   in Loop: Header=BB34_47 Depth=1
	s_or_b32 exec_lo, exec_lo, s0
	s_delay_alu instid0(VALU_DEP_1) | instskip(SKIP_1) | instid1(VALU_DEP_1)
	v_and_b32_e32 v1, 0xffff0000, v5
	v_and_b32_e32 v2, 0xffff0000, v2
	v_mul_f32_e32 v1, v1, v2
	s_delay_alu instid0(VALU_DEP_1) | instskip(NEXT) | instid1(VALU_DEP_1)
	v_and_b32_e32 v2, 0x7f800000, v1
	v_cmp_ne_u32_e32 vcc_lo, 0x7f800000, v2
                                        ; implicit-def: $vgpr2
	s_and_saveexec_b32 s0, vcc_lo
	s_delay_alu instid0(SALU_CYCLE_1)
	s_xor_b32 s0, exec_lo, s0
; %bb.124:                              ;   in Loop: Header=BB34_47 Depth=1
	v_bfe_u32 v2, v1, 16, 1
	s_delay_alu instid0(VALU_DEP_1)
	v_add3_u32 v2, v1, v2, 0x7fff
                                        ; implicit-def: $vgpr1
; %bb.125:                              ;   in Loop: Header=BB34_47 Depth=1
	s_and_not1_saveexec_b32 s0, s0
; %bb.126:                              ;   in Loop: Header=BB34_47 Depth=1
	v_and_b32_e32 v2, 0xffff, v1
	v_or_b32_e32 v5, 0x10000, v1
	s_delay_alu instid0(VALU_DEP_2) | instskip(NEXT) | instid1(VALU_DEP_2)
	v_cmp_eq_u32_e32 vcc_lo, 0, v2
	v_cndmask_b32_e32 v2, v5, v1, vcc_lo
; %bb.127:                              ;   in Loop: Header=BB34_47 Depth=1
	s_or_b32 exec_lo, exec_lo, s0
	s_delay_alu instid0(VALU_DEP_1) | instskip(SKIP_2) | instid1(VALU_DEP_2)
	v_and_b32_e32 v1, 0xffff0000, v2
	s_mov_b32 s0, exec_lo
	v_mov_b32_e32 v19, v11
	v_mul_f32_e32 v1, v23, v1
	s_delay_alu instid0(VALU_DEP_1) | instskip(NEXT) | instid1(VALU_DEP_1)
	v_minmax_f32 v1, v1, s4, 0xc3e00000
	v_lshrrev_b32_e32 v6, 24, v1
	v_and_b32_e32 v18, 0x7f800000, v1
	v_and_b32_e32 v10, 0x7fffff, v1
	s_delay_alu instid0(VALU_DEP_3) | instskip(NEXT) | instid1(VALU_DEP_1)
	v_and_b32_e32 v5, 0x80, v6
	v_or_b32_e32 v2, 0x7e, v5
	s_delay_alu instid0(VALU_DEP_4)
	v_cmpx_ne_u64_e32 0x7f800000, v[18:19]
	s_xor_b32 s5, exec_lo, s0
	s_cbranch_execz .LBB34_141
; %bb.128:                              ;   in Loop: Header=BB34_47 Depth=1
	v_dual_mov_b32 v19, v11 :: v_dual_and_b32 v18, 0x7fffffff, v1
	s_mov_b32 s0, exec_lo
	s_delay_alu instid0(VALU_DEP_1)
	v_cmpx_gt_u64_e32 0x43e00001, v[18:19]
	s_xor_b32 s6, exec_lo, s0
	s_cbranch_execz .LBB34_140
; %bb.129:                              ;   in Loop: Header=BB34_47 Depth=1
	v_mov_b32_e32 v2, 0
	s_mov_b32 s7, exec_lo
	v_cmpx_ne_u32_e32 0, v1
	s_cbranch_execz .LBB34_139
; %bb.130:                              ;   in Loop: Header=BB34_47 Depth=1
	v_bfe_u32 v6, v1, 23, 8
	s_delay_alu instid0(VALU_DEP_1) | instskip(SKIP_2) | instid1(VALU_DEP_3)
	v_sub_nc_u32_e64 v1, 0x79, v6 clamp
	v_cmp_eq_u32_e32 vcc_lo, 0, v6
	v_add_nc_u32_e32 v6, 0xffffff88, v6
	v_cndmask_b32_e64 v26, v1, 0x78, vcc_lo
	v_or_b32_e32 v1, 0x800000, v10
	s_delay_alu instid0(VALU_DEP_2) | instskip(NEXT) | instid1(VALU_DEP_2)
	v_add_nc_u32_e32 v2, 20, v26
	v_cndmask_b32_e32 v10, v1, v10, vcc_lo
	v_add_nc_u32_e32 v18, 19, v26
	s_delay_alu instid0(VALU_DEP_3) | instskip(NEXT) | instid1(VALU_DEP_1)
	v_lshlrev_b64 v[1:2], v2, -1
	v_not_b32_e32 v19, v2
	s_delay_alu instid0(VALU_DEP_2) | instskip(NEXT) | instid1(VALU_DEP_4)
	v_not_b32_e32 v27, v1
	v_lshlrev_b64 v[1:2], v18, 1
	s_delay_alu instid0(VALU_DEP_3) | instskip(SKIP_1) | instid1(VALU_DEP_4)
	v_and_b32_e32 v19, 0, v19
	v_lshrrev_b64 v[24:25], v26, v[10:11]
	v_and_b32_e32 v18, v10, v27
	s_delay_alu instid0(VALU_DEP_1) | instskip(NEXT) | instid1(VALU_DEP_3)
	v_cmp_eq_u64_e64 s0, v[18:19], v[1:2]
	v_and_b32_e32 v10, 0x100000, v24
	v_cndmask_b32_e64 v1, v6, 0xffffff89, vcc_lo
	v_lshrrev_b32_e32 v2, 23, v24
	s_delay_alu instid0(VALU_DEP_3) | instskip(NEXT) | instid1(VALU_DEP_2)
	v_cmp_eq_u64_e64 s1, 0, v[10:11]
	v_add3_u32 v18, v1, v26, v2
	s_delay_alu instid0(VALU_DEP_2) | instskip(NEXT) | instid1(VALU_DEP_1)
	s_and_b32 vcc_lo, s1, s0
	v_add_nc_u32_e32 v19, -1, v18
	v_subrev_co_ci_u32_e32 v6, vcc_lo, 0, v24, vcc_lo
	s_mov_b32 s0, exec_lo
	s_delay_alu instid0(VALU_DEP_1) | instskip(NEXT) | instid1(VALU_DEP_1)
	v_and_b32_e32 v1, 0xfffff, v6
                                        ; implicit-def: $vgpr6
	v_add_co_u32 v1, vcc_lo, v1, v24
	v_add_co_ci_u32_e32 v2, vcc_lo, 0, v25, vcc_lo
	v_cmpx_ne_u32_e32 0, v19
	s_xor_b32 s0, exec_lo, s0
; %bb.131:                              ;   in Loop: Header=BB34_47 Depth=1
	s_delay_alu instid0(VALU_DEP_3) | instskip(SKIP_1) | instid1(VALU_DEP_2)
	v_and_b32_e32 v10, 0x1000000, v1
	v_bfe_u32 v6, v1, 24, 1
	v_cmp_eq_u64_e32 vcc_lo, 0, v[10:11]
	s_delay_alu instid0(VALU_DEP_2)
	v_lshrrev_b64 v[1:2], v6, v[1:2]
	v_cndmask_b32_e32 v6, v18, v19, vcc_lo
; %bb.132:                              ;   in Loop: Header=BB34_47 Depth=1
	s_and_not1_saveexec_b32 s0, s0
; %bb.133:                              ;   in Loop: Header=BB34_47 Depth=1
	s_delay_alu instid0(VALU_DEP_2)
	v_bfe_u32 v6, v1, 23, 1
; %bb.134:                              ;   in Loop: Header=BB34_47 Depth=1
	s_or_b32 exec_lo, exec_lo, s0
	s_delay_alu instid0(VALU_DEP_3) | instskip(NEXT) | instid1(VALU_DEP_2)
	v_lshrrev_b64 v[1:2], 20, v[1:2]
	v_cmp_gt_i32_e32 vcc_lo, 16, v6
	v_cmp_ne_u32_e64 s0, 0, v6
	s_delay_alu instid0(VALU_DEP_3) | instskip(NEXT) | instid1(VALU_DEP_1)
	v_dual_cndmask_b32 v2, 0, v2 :: v_dual_cndmask_b32 v1, 7, v1
	v_cmp_ne_u64_e32 vcc_lo, 0, v[1:2]
                                        ; implicit-def: $vgpr2
	s_delay_alu instid0(VALU_DEP_3) | instskip(NEXT) | instid1(SALU_CYCLE_1)
	s_or_b32 s0, s0, vcc_lo
	s_and_saveexec_b32 s1, s0
	s_delay_alu instid0(SALU_CYCLE_1)
	s_xor_b32 s0, exec_lo, s1
; %bb.135:                              ;   in Loop: Header=BB34_47 Depth=1
	v_min_i32_e32 v2, 15, v6
	s_delay_alu instid0(VALU_DEP_1) | instskip(NEXT) | instid1(VALU_DEP_1)
	v_lshl_or_b32 v2, v2, 3, v5
                                        ; implicit-def: $vgpr5
	v_and_or_b32 v2, v1, 7, v2
; %bb.136:                              ;   in Loop: Header=BB34_47 Depth=1
	s_and_not1_saveexec_b32 s0, s0
; %bb.137:                              ;   in Loop: Header=BB34_47 Depth=1
	v_mov_b32_e32 v2, v5
; %bb.138:                              ;   in Loop: Header=BB34_47 Depth=1
	s_or_b32 exec_lo, exec_lo, s0
.LBB34_139:                             ;   in Loop: Header=BB34_47 Depth=1
	s_delay_alu instid0(SALU_CYCLE_1)
	s_or_b32 exec_lo, exec_lo, s7
.LBB34_140:                             ;   in Loop: Header=BB34_47 Depth=1
	s_and_not1_saveexec_b32 s0, s6
	s_delay_alu instid0(SALU_CYCLE_1)
	s_or_b32 exec_lo, exec_lo, s0
                                        ; implicit-def: $vgpr6
.LBB34_141:                             ;   in Loop: Header=BB34_47 Depth=1
	s_and_not1_saveexec_b32 s0, s5
; %bb.142:                              ;   in Loop: Header=BB34_47 Depth=1
	v_cmp_eq_u64_e32 vcc_lo, 0, v[10:11]
	v_or_b32_e32 v1, 0x7f, v6
	s_delay_alu instid0(VALU_DEP_1)
	v_cndmask_b32_e32 v2, v1, v2, vcc_lo
; %bb.143:                              ;   in Loop: Header=BB34_47 Depth=1
	s_or_b32 exec_lo, exec_lo, s0
	v_lshlrev_b32_e32 v1, 16, v7
	s_mov_b32 s0, exec_lo
	global_store_b8 v[16:17], v2, off offset:3
                                        ; implicit-def: $vgpr2
	v_mul_f32_e32 v1, v22, v1
	s_delay_alu instid0(VALU_DEP_1) | instskip(NEXT) | instid1(VALU_DEP_1)
	v_and_b32_e32 v5, 0x7f800000, v1
	v_cmpx_ne_u32_e32 0x7f800000, v5
	s_xor_b32 s0, exec_lo, s0
; %bb.144:                              ;   in Loop: Header=BB34_47 Depth=1
	v_bfe_u32 v2, v1, 16, 1
	s_delay_alu instid0(VALU_DEP_1)
	v_add3_u32 v2, v1, v2, 0x7fff
                                        ; implicit-def: $vgpr1
; %bb.145:                              ;   in Loop: Header=BB34_47 Depth=1
	s_and_not1_saveexec_b32 s0, s0
; %bb.146:                              ;   in Loop: Header=BB34_47 Depth=1
	v_and_b32_e32 v2, 0xffff, v1
	v_or_b32_e32 v5, 0x10000, v1
	s_delay_alu instid0(VALU_DEP_2) | instskip(NEXT) | instid1(VALU_DEP_2)
	v_cmp_eq_u32_e32 vcc_lo, 0, v2
	v_cndmask_b32_e32 v2, v5, v1, vcc_lo
; %bb.147:                              ;   in Loop: Header=BB34_47 Depth=1
	s_or_b32 exec_lo, exec_lo, s0
	s_delay_alu instid0(VALU_DEP_1) | instskip(SKIP_1) | instid1(VALU_DEP_1)
	v_and_b32_e32 v1, 0xffff0000, v2
	v_lshlrev_b32_e32 v2, 16, v3
	v_mul_f32_e32 v1, v1, v2
	s_delay_alu instid0(VALU_DEP_1) | instskip(NEXT) | instid1(VALU_DEP_1)
	v_and_b32_e32 v2, 0x7f800000, v1
	v_cmp_ne_u32_e32 vcc_lo, 0x7f800000, v2
                                        ; implicit-def: $vgpr2
	s_and_saveexec_b32 s0, vcc_lo
	s_delay_alu instid0(SALU_CYCLE_1)
	s_xor_b32 s0, exec_lo, s0
; %bb.148:                              ;   in Loop: Header=BB34_47 Depth=1
	v_bfe_u32 v2, v1, 16, 1
	s_delay_alu instid0(VALU_DEP_1)
	v_add3_u32 v2, v1, v2, 0x7fff
                                        ; implicit-def: $vgpr1
; %bb.149:                              ;   in Loop: Header=BB34_47 Depth=1
	s_and_not1_saveexec_b32 s0, s0
; %bb.150:                              ;   in Loop: Header=BB34_47 Depth=1
	v_and_b32_e32 v2, 0xffff, v1
	v_or_b32_e32 v5, 0x10000, v1
	s_delay_alu instid0(VALU_DEP_2) | instskip(NEXT) | instid1(VALU_DEP_2)
	v_cmp_eq_u32_e32 vcc_lo, 0, v2
	v_cndmask_b32_e32 v2, v5, v1, vcc_lo
; %bb.151:                              ;   in Loop: Header=BB34_47 Depth=1
	s_or_b32 exec_lo, exec_lo, s0
	s_delay_alu instid0(VALU_DEP_1) | instskip(SKIP_2) | instid1(VALU_DEP_2)
	v_and_b32_e32 v1, 0xffff0000, v2
	s_mov_b32 s0, exec_lo
	v_mov_b32_e32 v19, v11
	v_mul_f32_e32 v1, v23, v1
	s_delay_alu instid0(VALU_DEP_1) | instskip(NEXT) | instid1(VALU_DEP_1)
	v_minmax_f32 v1, v1, s4, 0xc3e00000
	v_lshrrev_b32_e32 v6, 24, v1
	v_and_b32_e32 v18, 0x7f800000, v1
	v_and_b32_e32 v10, 0x7fffff, v1
	s_delay_alu instid0(VALU_DEP_3) | instskip(NEXT) | instid1(VALU_DEP_1)
	v_and_b32_e32 v5, 0x80, v6
	v_or_b32_e32 v2, 0x7e, v5
	s_delay_alu instid0(VALU_DEP_4)
	v_cmpx_ne_u64_e32 0x7f800000, v[18:19]
	s_xor_b32 s5, exec_lo, s0
	s_cbranch_execz .LBB34_165
; %bb.152:                              ;   in Loop: Header=BB34_47 Depth=1
	v_dual_mov_b32 v19, v11 :: v_dual_and_b32 v18, 0x7fffffff, v1
	s_mov_b32 s0, exec_lo
	s_delay_alu instid0(VALU_DEP_1)
	v_cmpx_gt_u64_e32 0x43e00001, v[18:19]
	s_xor_b32 s6, exec_lo, s0
	s_cbranch_execz .LBB34_164
; %bb.153:                              ;   in Loop: Header=BB34_47 Depth=1
	v_mov_b32_e32 v2, 0
	s_mov_b32 s7, exec_lo
	v_cmpx_ne_u32_e32 0, v1
	s_cbranch_execz .LBB34_163
; %bb.154:                              ;   in Loop: Header=BB34_47 Depth=1
	v_bfe_u32 v6, v1, 23, 8
	s_delay_alu instid0(VALU_DEP_1) | instskip(SKIP_2) | instid1(VALU_DEP_3)
	v_sub_nc_u32_e64 v1, 0x79, v6 clamp
	v_cmp_eq_u32_e32 vcc_lo, 0, v6
	v_add_nc_u32_e32 v6, 0xffffff88, v6
	v_cndmask_b32_e64 v26, v1, 0x78, vcc_lo
	v_or_b32_e32 v1, 0x800000, v10
	s_delay_alu instid0(VALU_DEP_2) | instskip(NEXT) | instid1(VALU_DEP_2)
	v_add_nc_u32_e32 v2, 20, v26
	v_cndmask_b32_e32 v10, v1, v10, vcc_lo
	v_add_nc_u32_e32 v18, 19, v26
	s_delay_alu instid0(VALU_DEP_3) | instskip(NEXT) | instid1(VALU_DEP_1)
	v_lshlrev_b64 v[1:2], v2, -1
	v_not_b32_e32 v19, v2
	s_delay_alu instid0(VALU_DEP_2) | instskip(NEXT) | instid1(VALU_DEP_4)
	v_not_b32_e32 v27, v1
	v_lshlrev_b64 v[1:2], v18, 1
	s_delay_alu instid0(VALU_DEP_3) | instskip(SKIP_1) | instid1(VALU_DEP_4)
	v_and_b32_e32 v19, 0, v19
	v_lshrrev_b64 v[24:25], v26, v[10:11]
	v_and_b32_e32 v18, v10, v27
	s_delay_alu instid0(VALU_DEP_1) | instskip(NEXT) | instid1(VALU_DEP_3)
	v_cmp_eq_u64_e64 s0, v[18:19], v[1:2]
	v_and_b32_e32 v10, 0x100000, v24
	v_cndmask_b32_e64 v1, v6, 0xffffff89, vcc_lo
	v_lshrrev_b32_e32 v2, 23, v24
	s_delay_alu instid0(VALU_DEP_3) | instskip(NEXT) | instid1(VALU_DEP_2)
	v_cmp_eq_u64_e64 s1, 0, v[10:11]
	v_add3_u32 v18, v1, v26, v2
	s_delay_alu instid0(VALU_DEP_2) | instskip(NEXT) | instid1(VALU_DEP_1)
	s_and_b32 vcc_lo, s1, s0
	v_add_nc_u32_e32 v19, -1, v18
	v_subrev_co_ci_u32_e32 v6, vcc_lo, 0, v24, vcc_lo
	s_mov_b32 s0, exec_lo
	s_delay_alu instid0(VALU_DEP_1) | instskip(NEXT) | instid1(VALU_DEP_1)
	v_and_b32_e32 v1, 0xfffff, v6
                                        ; implicit-def: $vgpr6
	v_add_co_u32 v1, vcc_lo, v1, v24
	v_add_co_ci_u32_e32 v2, vcc_lo, 0, v25, vcc_lo
	v_cmpx_ne_u32_e32 0, v19
	s_xor_b32 s0, exec_lo, s0
; %bb.155:                              ;   in Loop: Header=BB34_47 Depth=1
	s_delay_alu instid0(VALU_DEP_3) | instskip(SKIP_1) | instid1(VALU_DEP_2)
	v_and_b32_e32 v10, 0x1000000, v1
	v_bfe_u32 v6, v1, 24, 1
	v_cmp_eq_u64_e32 vcc_lo, 0, v[10:11]
	s_delay_alu instid0(VALU_DEP_2)
	v_lshrrev_b64 v[1:2], v6, v[1:2]
	v_cndmask_b32_e32 v6, v18, v19, vcc_lo
; %bb.156:                              ;   in Loop: Header=BB34_47 Depth=1
	s_and_not1_saveexec_b32 s0, s0
; %bb.157:                              ;   in Loop: Header=BB34_47 Depth=1
	s_delay_alu instid0(VALU_DEP_2)
	v_bfe_u32 v6, v1, 23, 1
; %bb.158:                              ;   in Loop: Header=BB34_47 Depth=1
	s_or_b32 exec_lo, exec_lo, s0
	s_delay_alu instid0(VALU_DEP_3) | instskip(NEXT) | instid1(VALU_DEP_2)
	v_lshrrev_b64 v[1:2], 20, v[1:2]
	v_cmp_gt_i32_e32 vcc_lo, 16, v6
	v_cmp_ne_u32_e64 s0, 0, v6
	s_delay_alu instid0(VALU_DEP_3) | instskip(NEXT) | instid1(VALU_DEP_1)
	v_dual_cndmask_b32 v2, 0, v2 :: v_dual_cndmask_b32 v1, 7, v1
	v_cmp_ne_u64_e32 vcc_lo, 0, v[1:2]
                                        ; implicit-def: $vgpr2
	s_delay_alu instid0(VALU_DEP_3) | instskip(NEXT) | instid1(SALU_CYCLE_1)
	s_or_b32 s0, s0, vcc_lo
	s_and_saveexec_b32 s1, s0
	s_delay_alu instid0(SALU_CYCLE_1)
	s_xor_b32 s0, exec_lo, s1
; %bb.159:                              ;   in Loop: Header=BB34_47 Depth=1
	v_min_i32_e32 v2, 15, v6
	s_delay_alu instid0(VALU_DEP_1) | instskip(NEXT) | instid1(VALU_DEP_1)
	v_lshl_or_b32 v2, v2, 3, v5
                                        ; implicit-def: $vgpr5
	v_and_or_b32 v2, v1, 7, v2
; %bb.160:                              ;   in Loop: Header=BB34_47 Depth=1
	s_and_not1_saveexec_b32 s0, s0
; %bb.161:                              ;   in Loop: Header=BB34_47 Depth=1
	v_mov_b32_e32 v2, v5
; %bb.162:                              ;   in Loop: Header=BB34_47 Depth=1
	s_or_b32 exec_lo, exec_lo, s0
.LBB34_163:                             ;   in Loop: Header=BB34_47 Depth=1
	s_delay_alu instid0(SALU_CYCLE_1)
	s_or_b32 exec_lo, exec_lo, s7
.LBB34_164:                             ;   in Loop: Header=BB34_47 Depth=1
	s_and_not1_saveexec_b32 s0, s6
	s_delay_alu instid0(SALU_CYCLE_1)
	s_or_b32 exec_lo, exec_lo, s0
                                        ; implicit-def: $vgpr6
.LBB34_165:                             ;   in Loop: Header=BB34_47 Depth=1
	s_and_not1_saveexec_b32 s0, s5
; %bb.166:                              ;   in Loop: Header=BB34_47 Depth=1
	v_cmp_eq_u64_e32 vcc_lo, 0, v[10:11]
	v_or_b32_e32 v1, 0x7f, v6
	s_delay_alu instid0(VALU_DEP_1)
	v_cndmask_b32_e32 v2, v1, v2, vcc_lo
; %bb.167:                              ;   in Loop: Header=BB34_47 Depth=1
	s_or_b32 exec_lo, exec_lo, s0
	v_and_b32_e32 v1, 0xffff0000, v7
	s_mov_b32 s0, exec_lo
	global_store_b8 v[16:17], v2, off offset:4
                                        ; implicit-def: $vgpr2
	v_mul_f32_e32 v1, v22, v1
	s_delay_alu instid0(VALU_DEP_1) | instskip(NEXT) | instid1(VALU_DEP_1)
	v_and_b32_e32 v5, 0x7f800000, v1
	v_cmpx_ne_u32_e32 0x7f800000, v5
	s_xor_b32 s0, exec_lo, s0
; %bb.168:                              ;   in Loop: Header=BB34_47 Depth=1
	v_bfe_u32 v2, v1, 16, 1
	s_delay_alu instid0(VALU_DEP_1)
	v_add3_u32 v2, v1, v2, 0x7fff
                                        ; implicit-def: $vgpr1
; %bb.169:                              ;   in Loop: Header=BB34_47 Depth=1
	s_and_not1_saveexec_b32 s0, s0
; %bb.170:                              ;   in Loop: Header=BB34_47 Depth=1
	v_and_b32_e32 v2, 0xffff, v1
	v_or_b32_e32 v5, 0x10000, v1
	s_delay_alu instid0(VALU_DEP_2) | instskip(NEXT) | instid1(VALU_DEP_2)
	v_cmp_eq_u32_e32 vcc_lo, 0, v2
	v_cndmask_b32_e32 v2, v5, v1, vcc_lo
; %bb.171:                              ;   in Loop: Header=BB34_47 Depth=1
	s_or_b32 exec_lo, exec_lo, s0
	s_delay_alu instid0(VALU_DEP_1) | instskip(SKIP_1) | instid1(VALU_DEP_1)
	v_and_b32_e32 v1, 0xffff0000, v2
	v_and_b32_e32 v2, 0xffff0000, v3
	v_mul_f32_e32 v1, v1, v2
	s_delay_alu instid0(VALU_DEP_1) | instskip(NEXT) | instid1(VALU_DEP_1)
	v_and_b32_e32 v2, 0x7f800000, v1
	v_cmp_ne_u32_e32 vcc_lo, 0x7f800000, v2
                                        ; implicit-def: $vgpr2
	s_and_saveexec_b32 s0, vcc_lo
	s_delay_alu instid0(SALU_CYCLE_1)
	s_xor_b32 s0, exec_lo, s0
; %bb.172:                              ;   in Loop: Header=BB34_47 Depth=1
	v_bfe_u32 v2, v1, 16, 1
	s_delay_alu instid0(VALU_DEP_1)
	v_add3_u32 v2, v1, v2, 0x7fff
                                        ; implicit-def: $vgpr1
; %bb.173:                              ;   in Loop: Header=BB34_47 Depth=1
	s_and_not1_saveexec_b32 s0, s0
; %bb.174:                              ;   in Loop: Header=BB34_47 Depth=1
	v_and_b32_e32 v2, 0xffff, v1
	v_or_b32_e32 v3, 0x10000, v1
	s_delay_alu instid0(VALU_DEP_2) | instskip(NEXT) | instid1(VALU_DEP_2)
	v_cmp_eq_u32_e32 vcc_lo, 0, v2
	v_cndmask_b32_e32 v2, v3, v1, vcc_lo
; %bb.175:                              ;   in Loop: Header=BB34_47 Depth=1
	s_or_b32 exec_lo, exec_lo, s0
	s_delay_alu instid0(VALU_DEP_1) | instskip(SKIP_2) | instid1(VALU_DEP_2)
	v_and_b32_e32 v1, 0xffff0000, v2
	s_mov_b32 s0, exec_lo
	v_mov_b32_e32 v7, v11
	v_mul_f32_e32 v1, v23, v1
	s_delay_alu instid0(VALU_DEP_1) | instskip(NEXT) | instid1(VALU_DEP_1)
	v_minmax_f32 v1, v1, s4, 0xc3e00000
	v_lshrrev_b32_e32 v5, 24, v1
	v_and_b32_e32 v6, 0x7f800000, v1
	v_and_b32_e32 v10, 0x7fffff, v1
	s_delay_alu instid0(VALU_DEP_3) | instskip(NEXT) | instid1(VALU_DEP_1)
	v_and_b32_e32 v3, 0x80, v5
	v_or_b32_e32 v2, 0x7e, v3
	s_delay_alu instid0(VALU_DEP_4)
	v_cmpx_ne_u64_e32 0x7f800000, v[6:7]
	s_xor_b32 s5, exec_lo, s0
	s_cbranch_execz .LBB34_189
; %bb.176:                              ;   in Loop: Header=BB34_47 Depth=1
	v_dual_mov_b32 v6, v11 :: v_dual_and_b32 v5, 0x7fffffff, v1
	s_mov_b32 s0, exec_lo
	s_delay_alu instid0(VALU_DEP_1)
	v_cmpx_gt_u64_e32 0x43e00001, v[5:6]
	s_xor_b32 s6, exec_lo, s0
	s_cbranch_execz .LBB34_188
; %bb.177:                              ;   in Loop: Header=BB34_47 Depth=1
	v_mov_b32_e32 v2, 0
	s_mov_b32 s7, exec_lo
	v_cmpx_ne_u32_e32 0, v1
	s_cbranch_execz .LBB34_187
; %bb.178:                              ;   in Loop: Header=BB34_47 Depth=1
	v_bfe_u32 v7, v1, 23, 8
	s_delay_alu instid0(VALU_DEP_1) | instskip(SKIP_2) | instid1(VALU_DEP_3)
	v_sub_nc_u32_e64 v1, 0x79, v7 clamp
	v_cmp_eq_u32_e32 vcc_lo, 0, v7
	v_add_nc_u32_e32 v7, 0xffffff88, v7
	v_cndmask_b32_e64 v24, v1, 0x78, vcc_lo
	v_or_b32_e32 v1, 0x800000, v10
	s_delay_alu instid0(VALU_DEP_2) | instskip(NEXT) | instid1(VALU_DEP_2)
	v_add_nc_u32_e32 v2, 20, v24
	v_dual_cndmask_b32 v10, v1, v10 :: v_dual_add_nc_u32 v5, 19, v24
	s_delay_alu instid0(VALU_DEP_2) | instskip(NEXT) | instid1(VALU_DEP_2)
	v_lshlrev_b64 v[1:2], v2, -1
	v_lshrrev_b64 v[18:19], v24, v[10:11]
	s_delay_alu instid0(VALU_DEP_2) | instskip(NEXT) | instid1(VALU_DEP_3)
	v_not_b32_e32 v6, v2
	v_not_b32_e32 v25, v1
	v_lshlrev_b64 v[1:2], v5, 1
	s_delay_alu instid0(VALU_DEP_3) | instskip(NEXT) | instid1(VALU_DEP_3)
	v_and_b32_e32 v6, 0, v6
	v_and_b32_e32 v5, v10, v25
	;; [unrolled: 1-line block ×3, first 2 shown]
	s_delay_alu instid0(VALU_DEP_2) | instskip(NEXT) | instid1(VALU_DEP_2)
	v_cmp_eq_u64_e64 s0, v[5:6], v[1:2]
	v_cmp_eq_u64_e64 s1, 0, v[10:11]
	v_cndmask_b32_e64 v1, v7, 0xffffff89, vcc_lo
	v_lshrrev_b32_e32 v2, 23, v18
	s_delay_alu instid0(VALU_DEP_3) | instskip(NEXT) | instid1(VALU_DEP_1)
	s_and_b32 vcc_lo, s1, s0
	v_add3_u32 v6, v1, v24, v2
	v_subrev_co_ci_u32_e32 v5, vcc_lo, 0, v18, vcc_lo
	s_mov_b32 s0, exec_lo
	s_delay_alu instid0(VALU_DEP_2) | instskip(NEXT) | instid1(VALU_DEP_2)
	v_add_nc_u32_e32 v7, -1, v6
	v_and_b32_e32 v1, 0xfffff, v5
                                        ; implicit-def: $vgpr5
	s_delay_alu instid0(VALU_DEP_1) | instskip(SKIP_1) | instid1(VALU_DEP_4)
	v_add_co_u32 v1, vcc_lo, v1, v18
	v_add_co_ci_u32_e32 v2, vcc_lo, 0, v19, vcc_lo
	v_cmpx_ne_u32_e32 0, v7
	s_xor_b32 s0, exec_lo, s0
; %bb.179:                              ;   in Loop: Header=BB34_47 Depth=1
	s_delay_alu instid0(VALU_DEP_3) | instskip(SKIP_1) | instid1(VALU_DEP_2)
	v_and_b32_e32 v10, 0x1000000, v1
	v_bfe_u32 v5, v1, 24, 1
	v_cmp_eq_u64_e32 vcc_lo, 0, v[10:11]
	s_delay_alu instid0(VALU_DEP_2)
	v_lshrrev_b64 v[1:2], v5, v[1:2]
	v_cndmask_b32_e32 v5, v6, v7, vcc_lo
; %bb.180:                              ;   in Loop: Header=BB34_47 Depth=1
	s_and_not1_saveexec_b32 s0, s0
; %bb.181:                              ;   in Loop: Header=BB34_47 Depth=1
	s_delay_alu instid0(VALU_DEP_2)
	v_bfe_u32 v5, v1, 23, 1
; %bb.182:                              ;   in Loop: Header=BB34_47 Depth=1
	s_or_b32 exec_lo, exec_lo, s0
	s_delay_alu instid0(VALU_DEP_3) | instskip(NEXT) | instid1(VALU_DEP_2)
	v_lshrrev_b64 v[1:2], 20, v[1:2]
	v_cmp_gt_i32_e32 vcc_lo, 16, v5
	v_cmp_ne_u32_e64 s0, 0, v5
	s_delay_alu instid0(VALU_DEP_3) | instskip(NEXT) | instid1(VALU_DEP_1)
	v_dual_cndmask_b32 v2, 0, v2 :: v_dual_cndmask_b32 v1, 7, v1
	v_cmp_ne_u64_e32 vcc_lo, 0, v[1:2]
                                        ; implicit-def: $vgpr2
	s_delay_alu instid0(VALU_DEP_3) | instskip(NEXT) | instid1(SALU_CYCLE_1)
	s_or_b32 s0, s0, vcc_lo
	s_and_saveexec_b32 s1, s0
	s_delay_alu instid0(SALU_CYCLE_1)
	s_xor_b32 s0, exec_lo, s1
; %bb.183:                              ;   in Loop: Header=BB34_47 Depth=1
	v_min_i32_e32 v2, 15, v5
	s_delay_alu instid0(VALU_DEP_1) | instskip(NEXT) | instid1(VALU_DEP_1)
	v_lshl_or_b32 v2, v2, 3, v3
                                        ; implicit-def: $vgpr3
	v_and_or_b32 v2, v1, 7, v2
; %bb.184:                              ;   in Loop: Header=BB34_47 Depth=1
	s_and_not1_saveexec_b32 s0, s0
; %bb.185:                              ;   in Loop: Header=BB34_47 Depth=1
	v_mov_b32_e32 v2, v3
; %bb.186:                              ;   in Loop: Header=BB34_47 Depth=1
	s_or_b32 exec_lo, exec_lo, s0
.LBB34_187:                             ;   in Loop: Header=BB34_47 Depth=1
	s_delay_alu instid0(SALU_CYCLE_1)
	s_or_b32 exec_lo, exec_lo, s7
.LBB34_188:                             ;   in Loop: Header=BB34_47 Depth=1
	s_and_not1_saveexec_b32 s0, s6
	s_delay_alu instid0(SALU_CYCLE_1)
	s_or_b32 exec_lo, exec_lo, s0
                                        ; implicit-def: $vgpr5
.LBB34_189:                             ;   in Loop: Header=BB34_47 Depth=1
	s_and_not1_saveexec_b32 s0, s5
; %bb.190:                              ;   in Loop: Header=BB34_47 Depth=1
	v_cmp_eq_u64_e32 vcc_lo, 0, v[10:11]
	v_or_b32_e32 v1, 0x7f, v5
	s_delay_alu instid0(VALU_DEP_1)
	v_cndmask_b32_e32 v2, v1, v2, vcc_lo
; %bb.191:                              ;   in Loop: Header=BB34_47 Depth=1
	s_or_b32 exec_lo, exec_lo, s0
	v_lshlrev_b32_e32 v1, 16, v8
	s_mov_b32 s0, exec_lo
	global_store_b8 v[16:17], v2, off offset:5
                                        ; implicit-def: $vgpr2
	v_mul_f32_e32 v1, v22, v1
	s_delay_alu instid0(VALU_DEP_1) | instskip(NEXT) | instid1(VALU_DEP_1)
	v_and_b32_e32 v3, 0x7f800000, v1
	v_cmpx_ne_u32_e32 0x7f800000, v3
	s_xor_b32 s0, exec_lo, s0
; %bb.192:                              ;   in Loop: Header=BB34_47 Depth=1
	v_bfe_u32 v2, v1, 16, 1
	s_delay_alu instid0(VALU_DEP_1)
	v_add3_u32 v2, v1, v2, 0x7fff
                                        ; implicit-def: $vgpr1
; %bb.193:                              ;   in Loop: Header=BB34_47 Depth=1
	s_and_not1_saveexec_b32 s0, s0
; %bb.194:                              ;   in Loop: Header=BB34_47 Depth=1
	v_and_b32_e32 v2, 0xffff, v1
	v_or_b32_e32 v3, 0x10000, v1
	s_delay_alu instid0(VALU_DEP_2) | instskip(NEXT) | instid1(VALU_DEP_2)
	v_cmp_eq_u32_e32 vcc_lo, 0, v2
	v_cndmask_b32_e32 v2, v3, v1, vcc_lo
; %bb.195:                              ;   in Loop: Header=BB34_47 Depth=1
	s_or_b32 exec_lo, exec_lo, s0
	s_delay_alu instid0(VALU_DEP_1) | instskip(SKIP_1) | instid1(VALU_DEP_1)
	v_and_b32_e32 v1, 0xffff0000, v2
	v_lshlrev_b32_e32 v2, 16, v4
	v_mul_f32_e32 v1, v1, v2
	s_delay_alu instid0(VALU_DEP_1) | instskip(NEXT) | instid1(VALU_DEP_1)
	v_and_b32_e32 v2, 0x7f800000, v1
	v_cmp_ne_u32_e32 vcc_lo, 0x7f800000, v2
                                        ; implicit-def: $vgpr2
	s_and_saveexec_b32 s0, vcc_lo
	s_delay_alu instid0(SALU_CYCLE_1)
	s_xor_b32 s0, exec_lo, s0
; %bb.196:                              ;   in Loop: Header=BB34_47 Depth=1
	v_bfe_u32 v2, v1, 16, 1
	s_delay_alu instid0(VALU_DEP_1)
	v_add3_u32 v2, v1, v2, 0x7fff
                                        ; implicit-def: $vgpr1
; %bb.197:                              ;   in Loop: Header=BB34_47 Depth=1
	s_and_not1_saveexec_b32 s0, s0
; %bb.198:                              ;   in Loop: Header=BB34_47 Depth=1
	v_and_b32_e32 v2, 0xffff, v1
	v_or_b32_e32 v3, 0x10000, v1
	s_delay_alu instid0(VALU_DEP_2) | instskip(NEXT) | instid1(VALU_DEP_2)
	v_cmp_eq_u32_e32 vcc_lo, 0, v2
	v_cndmask_b32_e32 v2, v3, v1, vcc_lo
; %bb.199:                              ;   in Loop: Header=BB34_47 Depth=1
	s_or_b32 exec_lo, exec_lo, s0
	s_delay_alu instid0(VALU_DEP_1) | instskip(SKIP_2) | instid1(VALU_DEP_2)
	v_and_b32_e32 v1, 0xffff0000, v2
	s_mov_b32 s0, exec_lo
	v_mov_b32_e32 v7, v11
	v_mul_f32_e32 v1, v23, v1
	s_delay_alu instid0(VALU_DEP_1) | instskip(NEXT) | instid1(VALU_DEP_1)
	v_minmax_f32 v1, v1, s4, 0xc3e00000
	v_lshrrev_b32_e32 v5, 24, v1
	v_and_b32_e32 v6, 0x7f800000, v1
	v_and_b32_e32 v10, 0x7fffff, v1
	s_delay_alu instid0(VALU_DEP_3) | instskip(NEXT) | instid1(VALU_DEP_1)
	v_and_b32_e32 v3, 0x80, v5
	v_or_b32_e32 v2, 0x7e, v3
	s_delay_alu instid0(VALU_DEP_4)
	v_cmpx_ne_u64_e32 0x7f800000, v[6:7]
	s_xor_b32 s5, exec_lo, s0
	s_cbranch_execz .LBB34_213
; %bb.200:                              ;   in Loop: Header=BB34_47 Depth=1
	v_dual_mov_b32 v6, v11 :: v_dual_and_b32 v5, 0x7fffffff, v1
	s_mov_b32 s0, exec_lo
	s_delay_alu instid0(VALU_DEP_1)
	v_cmpx_gt_u64_e32 0x43e00001, v[5:6]
	s_xor_b32 s6, exec_lo, s0
	s_cbranch_execz .LBB34_212
; %bb.201:                              ;   in Loop: Header=BB34_47 Depth=1
	v_mov_b32_e32 v2, 0
	s_mov_b32 s7, exec_lo
	v_cmpx_ne_u32_e32 0, v1
	s_cbranch_execz .LBB34_211
; %bb.202:                              ;   in Loop: Header=BB34_47 Depth=1
	v_bfe_u32 v7, v1, 23, 8
	s_delay_alu instid0(VALU_DEP_1) | instskip(SKIP_2) | instid1(VALU_DEP_3)
	v_sub_nc_u32_e64 v1, 0x79, v7 clamp
	v_cmp_eq_u32_e32 vcc_lo, 0, v7
	v_add_nc_u32_e32 v7, 0xffffff88, v7
	v_cndmask_b32_e64 v24, v1, 0x78, vcc_lo
	v_or_b32_e32 v1, 0x800000, v10
	s_delay_alu instid0(VALU_DEP_2) | instskip(NEXT) | instid1(VALU_DEP_2)
	v_add_nc_u32_e32 v2, 20, v24
	v_dual_cndmask_b32 v10, v1, v10 :: v_dual_add_nc_u32 v5, 19, v24
	s_delay_alu instid0(VALU_DEP_2) | instskip(NEXT) | instid1(VALU_DEP_2)
	v_lshlrev_b64 v[1:2], v2, -1
	v_lshrrev_b64 v[18:19], v24, v[10:11]
	s_delay_alu instid0(VALU_DEP_2) | instskip(NEXT) | instid1(VALU_DEP_3)
	v_not_b32_e32 v6, v2
	v_not_b32_e32 v25, v1
	v_lshlrev_b64 v[1:2], v5, 1
	s_delay_alu instid0(VALU_DEP_3) | instskip(NEXT) | instid1(VALU_DEP_3)
	v_and_b32_e32 v6, 0, v6
	v_and_b32_e32 v5, v10, v25
	;; [unrolled: 1-line block ×3, first 2 shown]
	s_delay_alu instid0(VALU_DEP_2) | instskip(NEXT) | instid1(VALU_DEP_2)
	v_cmp_eq_u64_e64 s0, v[5:6], v[1:2]
	v_cmp_eq_u64_e64 s1, 0, v[10:11]
	v_cndmask_b32_e64 v1, v7, 0xffffff89, vcc_lo
	v_lshrrev_b32_e32 v2, 23, v18
	s_delay_alu instid0(VALU_DEP_3) | instskip(NEXT) | instid1(VALU_DEP_1)
	s_and_b32 vcc_lo, s1, s0
	v_add3_u32 v6, v1, v24, v2
	v_subrev_co_ci_u32_e32 v5, vcc_lo, 0, v18, vcc_lo
	s_mov_b32 s0, exec_lo
	s_delay_alu instid0(VALU_DEP_2) | instskip(NEXT) | instid1(VALU_DEP_2)
	v_add_nc_u32_e32 v7, -1, v6
	v_and_b32_e32 v1, 0xfffff, v5
                                        ; implicit-def: $vgpr5
	s_delay_alu instid0(VALU_DEP_1) | instskip(SKIP_1) | instid1(VALU_DEP_4)
	v_add_co_u32 v1, vcc_lo, v1, v18
	v_add_co_ci_u32_e32 v2, vcc_lo, 0, v19, vcc_lo
	v_cmpx_ne_u32_e32 0, v7
	s_xor_b32 s0, exec_lo, s0
; %bb.203:                              ;   in Loop: Header=BB34_47 Depth=1
	s_delay_alu instid0(VALU_DEP_3) | instskip(SKIP_1) | instid1(VALU_DEP_2)
	v_and_b32_e32 v10, 0x1000000, v1
	v_bfe_u32 v5, v1, 24, 1
	v_cmp_eq_u64_e32 vcc_lo, 0, v[10:11]
	s_delay_alu instid0(VALU_DEP_2)
	v_lshrrev_b64 v[1:2], v5, v[1:2]
	v_cndmask_b32_e32 v5, v6, v7, vcc_lo
; %bb.204:                              ;   in Loop: Header=BB34_47 Depth=1
	s_and_not1_saveexec_b32 s0, s0
; %bb.205:                              ;   in Loop: Header=BB34_47 Depth=1
	s_delay_alu instid0(VALU_DEP_2)
	v_bfe_u32 v5, v1, 23, 1
; %bb.206:                              ;   in Loop: Header=BB34_47 Depth=1
	s_or_b32 exec_lo, exec_lo, s0
	s_delay_alu instid0(VALU_DEP_3) | instskip(NEXT) | instid1(VALU_DEP_2)
	v_lshrrev_b64 v[1:2], 20, v[1:2]
	v_cmp_gt_i32_e32 vcc_lo, 16, v5
	v_cmp_ne_u32_e64 s0, 0, v5
	s_delay_alu instid0(VALU_DEP_3) | instskip(NEXT) | instid1(VALU_DEP_1)
	v_dual_cndmask_b32 v2, 0, v2 :: v_dual_cndmask_b32 v1, 7, v1
	v_cmp_ne_u64_e32 vcc_lo, 0, v[1:2]
                                        ; implicit-def: $vgpr2
	s_delay_alu instid0(VALU_DEP_3) | instskip(NEXT) | instid1(SALU_CYCLE_1)
	s_or_b32 s0, s0, vcc_lo
	s_and_saveexec_b32 s1, s0
	s_delay_alu instid0(SALU_CYCLE_1)
	s_xor_b32 s0, exec_lo, s1
; %bb.207:                              ;   in Loop: Header=BB34_47 Depth=1
	v_min_i32_e32 v2, 15, v5
	s_delay_alu instid0(VALU_DEP_1) | instskip(NEXT) | instid1(VALU_DEP_1)
	v_lshl_or_b32 v2, v2, 3, v3
                                        ; implicit-def: $vgpr3
	v_and_or_b32 v2, v1, 7, v2
; %bb.208:                              ;   in Loop: Header=BB34_47 Depth=1
	s_and_not1_saveexec_b32 s0, s0
; %bb.209:                              ;   in Loop: Header=BB34_47 Depth=1
	v_mov_b32_e32 v2, v3
; %bb.210:                              ;   in Loop: Header=BB34_47 Depth=1
	s_or_b32 exec_lo, exec_lo, s0
.LBB34_211:                             ;   in Loop: Header=BB34_47 Depth=1
	s_delay_alu instid0(SALU_CYCLE_1)
	s_or_b32 exec_lo, exec_lo, s7
.LBB34_212:                             ;   in Loop: Header=BB34_47 Depth=1
	s_and_not1_saveexec_b32 s0, s6
	s_delay_alu instid0(SALU_CYCLE_1)
	s_or_b32 exec_lo, exec_lo, s0
                                        ; implicit-def: $vgpr5
.LBB34_213:                             ;   in Loop: Header=BB34_47 Depth=1
	s_and_not1_saveexec_b32 s0, s5
; %bb.214:                              ;   in Loop: Header=BB34_47 Depth=1
	v_cmp_eq_u64_e32 vcc_lo, 0, v[10:11]
	v_or_b32_e32 v1, 0x7f, v5
	s_delay_alu instid0(VALU_DEP_1)
	v_cndmask_b32_e32 v2, v1, v2, vcc_lo
; %bb.215:                              ;   in Loop: Header=BB34_47 Depth=1
	s_or_b32 exec_lo, exec_lo, s0
	v_and_b32_e32 v1, 0xffff0000, v8
	s_mov_b32 s0, exec_lo
	global_store_b8 v[16:17], v2, off offset:6
                                        ; implicit-def: $vgpr2
	v_mul_f32_e32 v1, v22, v1
	s_delay_alu instid0(VALU_DEP_1) | instskip(NEXT) | instid1(VALU_DEP_1)
	v_and_b32_e32 v3, 0x7f800000, v1
	v_cmpx_ne_u32_e32 0x7f800000, v3
	s_xor_b32 s0, exec_lo, s0
; %bb.216:                              ;   in Loop: Header=BB34_47 Depth=1
	v_bfe_u32 v2, v1, 16, 1
	s_delay_alu instid0(VALU_DEP_1)
	v_add3_u32 v2, v1, v2, 0x7fff
                                        ; implicit-def: $vgpr1
; %bb.217:                              ;   in Loop: Header=BB34_47 Depth=1
	s_and_not1_saveexec_b32 s0, s0
; %bb.218:                              ;   in Loop: Header=BB34_47 Depth=1
	v_and_b32_e32 v2, 0xffff, v1
	v_or_b32_e32 v3, 0x10000, v1
	s_delay_alu instid0(VALU_DEP_2) | instskip(NEXT) | instid1(VALU_DEP_2)
	v_cmp_eq_u32_e32 vcc_lo, 0, v2
	v_cndmask_b32_e32 v2, v3, v1, vcc_lo
; %bb.219:                              ;   in Loop: Header=BB34_47 Depth=1
	s_or_b32 exec_lo, exec_lo, s0
	s_delay_alu instid0(VALU_DEP_1) | instskip(SKIP_1) | instid1(VALU_DEP_1)
	v_and_b32_e32 v1, 0xffff0000, v2
	v_and_b32_e32 v2, 0xffff0000, v4
	v_mul_f32_e32 v1, v1, v2
	s_delay_alu instid0(VALU_DEP_1) | instskip(NEXT) | instid1(VALU_DEP_1)
	v_and_b32_e32 v2, 0x7f800000, v1
	v_cmp_ne_u32_e32 vcc_lo, 0x7f800000, v2
                                        ; implicit-def: $vgpr2
	s_and_saveexec_b32 s0, vcc_lo
	s_delay_alu instid0(SALU_CYCLE_1)
	s_xor_b32 s0, exec_lo, s0
; %bb.220:                              ;   in Loop: Header=BB34_47 Depth=1
	v_bfe_u32 v2, v1, 16, 1
	s_delay_alu instid0(VALU_DEP_1)
	v_add3_u32 v2, v1, v2, 0x7fff
                                        ; implicit-def: $vgpr1
; %bb.221:                              ;   in Loop: Header=BB34_47 Depth=1
	s_and_not1_saveexec_b32 s0, s0
; %bb.222:                              ;   in Loop: Header=BB34_47 Depth=1
	v_and_b32_e32 v2, 0xffff, v1
	v_or_b32_e32 v3, 0x10000, v1
	s_delay_alu instid0(VALU_DEP_2) | instskip(NEXT) | instid1(VALU_DEP_2)
	v_cmp_eq_u32_e32 vcc_lo, 0, v2
	v_cndmask_b32_e32 v2, v3, v1, vcc_lo
; %bb.223:                              ;   in Loop: Header=BB34_47 Depth=1
	s_or_b32 exec_lo, exec_lo, s0
	s_delay_alu instid0(VALU_DEP_1) | instskip(SKIP_1) | instid1(VALU_DEP_1)
	v_dual_mov_b32 v6, v11 :: v_dual_and_b32 v1, 0xffff0000, v2
	s_mov_b32 s0, exec_lo
	v_mul_f32_e32 v1, v23, v1
	s_delay_alu instid0(VALU_DEP_1) | instskip(NEXT) | instid1(VALU_DEP_1)
	v_minmax_f32 v1, v1, s4, 0xc3e00000
	v_lshrrev_b32_e32 v4, 24, v1
	v_and_b32_e32 v5, 0x7f800000, v1
	v_and_b32_e32 v10, 0x7fffff, v1
	s_delay_alu instid0(VALU_DEP_3) | instskip(NEXT) | instid1(VALU_DEP_1)
	v_and_b32_e32 v3, 0x80, v4
	v_or_b32_e32 v2, 0x7e, v3
	s_delay_alu instid0(VALU_DEP_4)
	v_cmpx_ne_u64_e32 0x7f800000, v[5:6]
	s_xor_b32 s5, exec_lo, s0
	s_cbranch_execz .LBB34_237
; %bb.224:                              ;   in Loop: Header=BB34_47 Depth=1
	v_dual_mov_b32 v5, v11 :: v_dual_and_b32 v4, 0x7fffffff, v1
	s_mov_b32 s0, exec_lo
	s_delay_alu instid0(VALU_DEP_1)
	v_cmpx_gt_u64_e32 0x43e00001, v[4:5]
	s_xor_b32 s6, exec_lo, s0
	s_cbranch_execz .LBB34_236
; %bb.225:                              ;   in Loop: Header=BB34_47 Depth=1
	v_mov_b32_e32 v2, 0
	s_mov_b32 s7, exec_lo
	v_cmpx_ne_u32_e32 0, v1
	s_cbranch_execz .LBB34_235
; %bb.226:                              ;   in Loop: Header=BB34_47 Depth=1
	v_bfe_u32 v6, v1, 23, 8
	s_delay_alu instid0(VALU_DEP_1) | instskip(SKIP_2) | instid1(VALU_DEP_3)
	v_sub_nc_u32_e64 v1, 0x79, v6 clamp
	v_cmp_eq_u32_e32 vcc_lo, 0, v6
	v_add_nc_u32_e32 v6, 0xffffff88, v6
	v_cndmask_b32_e64 v18, v1, 0x78, vcc_lo
	v_or_b32_e32 v1, 0x800000, v10
	s_delay_alu instid0(VALU_DEP_2) | instskip(NEXT) | instid1(VALU_DEP_2)
	v_add_nc_u32_e32 v2, 20, v18
	v_cndmask_b32_e32 v10, v1, v10, vcc_lo
	v_add_nc_u32_e32 v4, 19, v18
	s_delay_alu instid0(VALU_DEP_3) | instskip(NEXT) | instid1(VALU_DEP_1)
	v_lshlrev_b64 v[1:2], v2, -1
	v_not_b32_e32 v5, v2
	s_delay_alu instid0(VALU_DEP_2) | instskip(NEXT) | instid1(VALU_DEP_4)
	v_not_b32_e32 v19, v1
	v_lshlrev_b64 v[1:2], v4, 1
	s_delay_alu instid0(VALU_DEP_3) | instskip(SKIP_1) | instid1(VALU_DEP_4)
	v_and_b32_e32 v5, 0, v5
	v_lshrrev_b64 v[7:8], v18, v[10:11]
	v_and_b32_e32 v4, v10, v19
	s_delay_alu instid0(VALU_DEP_1) | instskip(NEXT) | instid1(VALU_DEP_3)
	v_cmp_eq_u64_e64 s0, v[4:5], v[1:2]
	v_and_b32_e32 v10, 0x100000, v7
	v_cndmask_b32_e64 v1, v6, 0xffffff89, vcc_lo
	v_lshrrev_b32_e32 v2, 23, v7
	s_delay_alu instid0(VALU_DEP_3) | instskip(NEXT) | instid1(VALU_DEP_2)
	v_cmp_eq_u64_e64 s1, 0, v[10:11]
	v_add3_u32 v5, v1, v18, v2
	s_delay_alu instid0(VALU_DEP_2) | instskip(NEXT) | instid1(VALU_DEP_1)
	s_and_b32 vcc_lo, s1, s0
	v_add_nc_u32_e32 v6, -1, v5
	v_subrev_co_ci_u32_e32 v4, vcc_lo, 0, v7, vcc_lo
	s_mov_b32 s0, exec_lo
	s_delay_alu instid0(VALU_DEP_1) | instskip(NEXT) | instid1(VALU_DEP_1)
	v_and_b32_e32 v1, 0xfffff, v4
                                        ; implicit-def: $vgpr4
	v_add_co_u32 v1, vcc_lo, v1, v7
	v_add_co_ci_u32_e32 v2, vcc_lo, 0, v8, vcc_lo
	v_cmpx_ne_u32_e32 0, v6
	s_xor_b32 s0, exec_lo, s0
; %bb.227:                              ;   in Loop: Header=BB34_47 Depth=1
	s_delay_alu instid0(VALU_DEP_3) | instskip(SKIP_1) | instid1(VALU_DEP_2)
	v_and_b32_e32 v10, 0x1000000, v1
	v_bfe_u32 v4, v1, 24, 1
	v_cmp_eq_u64_e32 vcc_lo, 0, v[10:11]
	s_delay_alu instid0(VALU_DEP_2)
	v_lshrrev_b64 v[1:2], v4, v[1:2]
	v_cndmask_b32_e32 v4, v5, v6, vcc_lo
; %bb.228:                              ;   in Loop: Header=BB34_47 Depth=1
	s_and_not1_saveexec_b32 s0, s0
; %bb.229:                              ;   in Loop: Header=BB34_47 Depth=1
	s_delay_alu instid0(VALU_DEP_2)
	v_bfe_u32 v4, v1, 23, 1
; %bb.230:                              ;   in Loop: Header=BB34_47 Depth=1
	s_or_b32 exec_lo, exec_lo, s0
	s_delay_alu instid0(VALU_DEP_3) | instskip(NEXT) | instid1(VALU_DEP_2)
	v_lshrrev_b64 v[1:2], 20, v[1:2]
	v_cmp_gt_i32_e32 vcc_lo, 16, v4
	v_cmp_ne_u32_e64 s0, 0, v4
	s_delay_alu instid0(VALU_DEP_3) | instskip(NEXT) | instid1(VALU_DEP_1)
	v_dual_cndmask_b32 v2, 0, v2 :: v_dual_cndmask_b32 v1, 7, v1
	v_cmp_ne_u64_e32 vcc_lo, 0, v[1:2]
                                        ; implicit-def: $vgpr2
	s_delay_alu instid0(VALU_DEP_3) | instskip(NEXT) | instid1(SALU_CYCLE_1)
	s_or_b32 s0, s0, vcc_lo
	s_and_saveexec_b32 s1, s0
	s_delay_alu instid0(SALU_CYCLE_1)
	s_xor_b32 s0, exec_lo, s1
; %bb.231:                              ;   in Loop: Header=BB34_47 Depth=1
	v_min_i32_e32 v2, 15, v4
	s_delay_alu instid0(VALU_DEP_1) | instskip(NEXT) | instid1(VALU_DEP_1)
	v_lshl_or_b32 v2, v2, 3, v3
                                        ; implicit-def: $vgpr3
	v_and_or_b32 v2, v1, 7, v2
; %bb.232:                              ;   in Loop: Header=BB34_47 Depth=1
	s_and_not1_saveexec_b32 s0, s0
; %bb.233:                              ;   in Loop: Header=BB34_47 Depth=1
	v_mov_b32_e32 v2, v3
; %bb.234:                              ;   in Loop: Header=BB34_47 Depth=1
	s_or_b32 exec_lo, exec_lo, s0
.LBB34_235:                             ;   in Loop: Header=BB34_47 Depth=1
	s_delay_alu instid0(SALU_CYCLE_1)
	s_or_b32 exec_lo, exec_lo, s7
.LBB34_236:                             ;   in Loop: Header=BB34_47 Depth=1
	s_and_not1_saveexec_b32 s0, s6
	s_delay_alu instid0(SALU_CYCLE_1)
	s_or_b32 exec_lo, exec_lo, s0
                                        ; implicit-def: $vgpr4
.LBB34_237:                             ;   in Loop: Header=BB34_47 Depth=1
	s_and_not1_saveexec_b32 s0, s5
	s_cbranch_execz .LBB34_46
; %bb.238:                              ;   in Loop: Header=BB34_47 Depth=1
	v_cmp_eq_u64_e32 vcc_lo, 0, v[10:11]
	v_or_b32_e32 v1, 0x7f, v4
	s_delay_alu instid0(VALU_DEP_1)
	v_cndmask_b32_e32 v2, v1, v2, vcc_lo
	s_branch .LBB34_46
.LBB34_239:
	s_nop 0
	s_sendmsg sendmsg(MSG_DEALLOC_VGPRS)
	s_endpgm
	.section	.rodata,"a",@progbits
	.p2align	6, 0x0
	.amdhsa_kernel _ZN4vllm42fused_add_rms_norm_static_fp8_quant_kernelIN3c108BFloat16ELi8ENS1_13Float8_e4m3fnEEENSt9enable_ifIXaagtT0_Li0Esr12_typeConvertIT_EE6existsEvE4typeEPT1_PS5_iSA_PKS5_PKffii
		.amdhsa_group_segment_fixed_size 132
		.amdhsa_private_segment_fixed_size 0
		.amdhsa_kernarg_size 320
		.amdhsa_user_sgpr_count 15
		.amdhsa_user_sgpr_dispatch_ptr 0
		.amdhsa_user_sgpr_queue_ptr 0
		.amdhsa_user_sgpr_kernarg_segment_ptr 1
		.amdhsa_user_sgpr_dispatch_id 0
		.amdhsa_user_sgpr_private_segment_size 0
		.amdhsa_wavefront_size32 1
		.amdhsa_uses_dynamic_stack 0
		.amdhsa_enable_private_segment 0
		.amdhsa_system_sgpr_workgroup_id_x 1
		.amdhsa_system_sgpr_workgroup_id_y 0
		.amdhsa_system_sgpr_workgroup_id_z 0
		.amdhsa_system_sgpr_workgroup_info 0
		.amdhsa_system_vgpr_workitem_id 0
		.amdhsa_next_free_vgpr 30
		.amdhsa_next_free_sgpr 21
		.amdhsa_reserve_vcc 1
		.amdhsa_float_round_mode_32 0
		.amdhsa_float_round_mode_16_64 0
		.amdhsa_float_denorm_mode_32 3
		.amdhsa_float_denorm_mode_16_64 3
		.amdhsa_dx10_clamp 1
		.amdhsa_ieee_mode 1
		.amdhsa_fp16_overflow 0
		.amdhsa_workgroup_processor_mode 1
		.amdhsa_memory_ordered 1
		.amdhsa_forward_progress 0
		.amdhsa_shared_vgpr_count 0
		.amdhsa_exception_fp_ieee_invalid_op 0
		.amdhsa_exception_fp_denorm_src 0
		.amdhsa_exception_fp_ieee_div_zero 0
		.amdhsa_exception_fp_ieee_overflow 0
		.amdhsa_exception_fp_ieee_underflow 0
		.amdhsa_exception_fp_ieee_inexact 0
		.amdhsa_exception_int_div_zero 0
	.end_amdhsa_kernel
	.section	.text._ZN4vllm42fused_add_rms_norm_static_fp8_quant_kernelIN3c108BFloat16ELi8ENS1_13Float8_e4m3fnEEENSt9enable_ifIXaagtT0_Li0Esr12_typeConvertIT_EE6existsEvE4typeEPT1_PS5_iSA_PKS5_PKffii,"axG",@progbits,_ZN4vllm42fused_add_rms_norm_static_fp8_quant_kernelIN3c108BFloat16ELi8ENS1_13Float8_e4m3fnEEENSt9enable_ifIXaagtT0_Li0Esr12_typeConvertIT_EE6existsEvE4typeEPT1_PS5_iSA_PKS5_PKffii,comdat
.Lfunc_end34:
	.size	_ZN4vllm42fused_add_rms_norm_static_fp8_quant_kernelIN3c108BFloat16ELi8ENS1_13Float8_e4m3fnEEENSt9enable_ifIXaagtT0_Li0Esr12_typeConvertIT_EE6existsEvE4typeEPT1_PS5_iSA_PKS5_PKffii, .Lfunc_end34-_ZN4vllm42fused_add_rms_norm_static_fp8_quant_kernelIN3c108BFloat16ELi8ENS1_13Float8_e4m3fnEEENSt9enable_ifIXaagtT0_Li0Esr12_typeConvertIT_EE6existsEvE4typeEPT1_PS5_iSA_PKS5_PKffii
                                        ; -- End function
	.section	.AMDGPU.csdata,"",@progbits
; Kernel info:
; codeLenInByte = 9028
; NumSgprs: 23
; NumVgprs: 30
; ScratchSize: 0
; MemoryBound: 0
; FloatMode: 240
; IeeeMode: 1
; LDSByteSize: 132 bytes/workgroup (compile time only)
; SGPRBlocks: 2
; VGPRBlocks: 3
; NumSGPRsForWavesPerEU: 23
; NumVGPRsForWavesPerEU: 30
; Occupancy: 16
; WaveLimiterHint : 0
; COMPUTE_PGM_RSRC2:SCRATCH_EN: 0
; COMPUTE_PGM_RSRC2:USER_SGPR: 15
; COMPUTE_PGM_RSRC2:TRAP_HANDLER: 0
; COMPUTE_PGM_RSRC2:TGID_X_EN: 1
; COMPUTE_PGM_RSRC2:TGID_Y_EN: 0
; COMPUTE_PGM_RSRC2:TGID_Z_EN: 0
; COMPUTE_PGM_RSRC2:TIDIG_COMP_CNT: 0
	.section	.text._ZN4vllm42fused_add_rms_norm_static_fp8_quant_kernelIN3c108BFloat16ELi8ENS1_15Float8_e4m3fnuzEEENSt9enable_ifIXaagtT0_Li0Esr12_typeConvertIT_EE6existsEvE4typeEPT1_PS5_iSA_PKS5_PKffii,"axG",@progbits,_ZN4vllm42fused_add_rms_norm_static_fp8_quant_kernelIN3c108BFloat16ELi8ENS1_15Float8_e4m3fnuzEEENSt9enable_ifIXaagtT0_Li0Esr12_typeConvertIT_EE6existsEvE4typeEPT1_PS5_iSA_PKS5_PKffii,comdat
	.protected	_ZN4vllm42fused_add_rms_norm_static_fp8_quant_kernelIN3c108BFloat16ELi8ENS1_15Float8_e4m3fnuzEEENSt9enable_ifIXaagtT0_Li0Esr12_typeConvertIT_EE6existsEvE4typeEPT1_PS5_iSA_PKS5_PKffii ; -- Begin function _ZN4vllm42fused_add_rms_norm_static_fp8_quant_kernelIN3c108BFloat16ELi8ENS1_15Float8_e4m3fnuzEEENSt9enable_ifIXaagtT0_Li0Esr12_typeConvertIT_EE6existsEvE4typeEPT1_PS5_iSA_PKS5_PKffii
	.globl	_ZN4vllm42fused_add_rms_norm_static_fp8_quant_kernelIN3c108BFloat16ELi8ENS1_15Float8_e4m3fnuzEEENSt9enable_ifIXaagtT0_Li0Esr12_typeConvertIT_EE6existsEvE4typeEPT1_PS5_iSA_PKS5_PKffii
	.p2align	8
	.type	_ZN4vllm42fused_add_rms_norm_static_fp8_quant_kernelIN3c108BFloat16ELi8ENS1_15Float8_e4m3fnuzEEENSt9enable_ifIXaagtT0_Li0Esr12_typeConvertIT_EE6existsEvE4typeEPT1_PS5_iSA_PKS5_PKffii,@function
_ZN4vllm42fused_add_rms_norm_static_fp8_quant_kernelIN3c108BFloat16ELi8ENS1_15Float8_e4m3fnuzEEENSt9enable_ifIXaagtT0_Li0Esr12_typeConvertIT_EE6existsEvE4typeEPT1_PS5_iSA_PKS5_PKffii: ; @_ZN4vllm42fused_add_rms_norm_static_fp8_quant_kernelIN3c108BFloat16ELi8ENS1_15Float8_e4m3fnuzEEENSt9enable_ifIXaagtT0_Li0Esr12_typeConvertIT_EE6existsEvE4typeEPT1_PS5_iSA_PKS5_PKffii
; %bb.0:
	s_clause 0x1
	s_load_b32 s16, s[0:1], 0x38
	s_load_b64 s[8:9], s[0:1], 0x18
	s_mov_b32 s4, exec_lo
                                        ; implicit-def: $sgpr13
                                        ; implicit-def: $sgpr12
	s_waitcnt lgkmcnt(0)
	s_ashr_i32 s2, s16, 31
	s_delay_alu instid0(SALU_CYCLE_1) | instskip(NEXT) | instid1(SALU_CYCLE_1)
	s_lshr_b32 s2, s2, 29
	s_add_i32 s2, s16, s2
	s_delay_alu instid0(SALU_CYCLE_1) | instskip(NEXT) | instid1(SALU_CYCLE_1)
	s_ashr_i32 s3, s2, 3
	v_cmp_gt_i32_e64 s2, s3, v0
	v_cmpx_le_i32_e64 s3, v0
	s_xor_b32 s4, exec_lo, s4
	s_cbranch_execz .LBB35_2
; %bb.1:
	s_load_b32 s5, s[0:1], 0x4c
	s_mov_b32 s13, 0
	s_waitcnt lgkmcnt(0)
	s_and_b32 s12, s5, 0xffff
.LBB35_2:
	s_or_saveexec_b32 s17, s4
	s_clause 0x1
	s_load_b64 s[10:11], s[0:1], 0x0
	s_load_b128 s[4:7], s[0:1], 0x20
	v_mov_b32_e32 v7, s13
	v_mov_b32_e32 v9, s12
	s_mul_i32 s14, s3, s15
	s_xor_b32 exec_lo, exec_lo, s17
	s_cbranch_execz .LBB35_38
; %bb.3:
	s_clause 0x2
	s_load_b32 s18, s[0:1], 0x10
	s_load_b32 s19, s[0:1], 0x4c
	s_load_b64 s[12:13], s[0:1], 0x8
	v_dual_mov_b32 v7, 0 :: v_dual_mov_b32 v8, v0
	s_waitcnt lgkmcnt(0)
	s_ashr_i32 s20, s18, 31
	s_delay_alu instid0(SALU_CYCLE_1) | instskip(NEXT) | instid1(SALU_CYCLE_1)
	s_lshr_b32 s20, s20, 29
	s_add_i32 s18, s18, s20
	s_delay_alu instid0(SALU_CYCLE_1)
	s_ashr_i32 s20, s18, 3
	s_and_b32 s18, s19, 0xffff
	s_mul_i32 s19, s20, s15
	s_mov_b32 s15, 0
	s_branch .LBB35_5
.LBB35_4:                               ;   in Loop: Header=BB35_5 Depth=1
	s_or_b32 exec_lo, exec_lo, s20
	v_and_b32_e32 v14, 0xffff0000, v2
	v_and_b32_e32 v13, 0xffff0000, v1
	;; [unrolled: 1-line block ×4, first 2 shown]
	v_perm_b32 v3, v3, v11, 0x7060302
	s_delay_alu instid0(VALU_DEP_4) | instskip(NEXT) | instid1(VALU_DEP_4)
	v_dual_mul_f32 v14, v14, v14 :: v_dual_mul_f32 v13, v13, v13
	v_mul_f32_e32 v17, v17, v17
	v_and_b32_e32 v15, 0xffff0000, v9
	v_perm_b32 v2, v2, v10, 0x7060302
	s_delay_alu instid0(VALU_DEP_4)
	v_fmac_f32_e32 v14, v16, v16
	v_add_nc_u32_e32 v8, s18, v8
	v_perm_b32 v1, v1, v9, 0x7060302
	v_fmac_f32_e32 v13, v15, v15
	v_and_b32_e32 v18, 0xffff0000, v11
	v_and_b32_e32 v15, 0xffff0000, v12
	;; [unrolled: 1-line block ×3, first 2 shown]
	v_cmp_le_i32_e32 vcc_lo, s3, v8
	v_add_f32_e32 v13, v13, v14
	v_fmac_f32_e32 v17, v18, v18
	v_perm_b32 v4, v4, v12, 0x7060302
	v_mul_f32_e32 v16, v19, v19
	s_or_b32 s15, vcc_lo, s15
	s_delay_alu instid0(VALU_DEP_3) | instskip(SKIP_2) | instid1(VALU_DEP_1)
	v_add_f32_e32 v13, v13, v17
	global_store_b128 v[5:6], v[1:4], off
	v_fmac_f32_e32 v16, v15, v15
	v_add_f32_e32 v13, v13, v16
	s_delay_alu instid0(VALU_DEP_1)
	v_add_f32_e32 v7, v7, v13
	s_and_not1_b32 exec_lo, exec_lo, s15
	s_cbranch_execz .LBB35_37
.LBB35_5:                               ; =>This Inner Loop Header: Depth=1
	v_add_nc_u32_e32 v1, s19, v8
	v_add_nc_u32_e32 v3, s14, v8
	s_delay_alu instid0(VALU_DEP_2) | instskip(NEXT) | instid1(VALU_DEP_2)
	v_ashrrev_i32_e32 v2, 31, v1
	v_ashrrev_i32_e32 v4, 31, v3
	s_delay_alu instid0(VALU_DEP_2) | instskip(NEXT) | instid1(VALU_DEP_2)
	v_lshlrev_b64 v[1:2], 4, v[1:2]
	v_lshlrev_b64 v[3:4], 4, v[3:4]
	s_delay_alu instid0(VALU_DEP_2) | instskip(NEXT) | instid1(VALU_DEP_3)
	v_add_co_u32 v1, vcc_lo, s12, v1
	v_add_co_ci_u32_e32 v2, vcc_lo, s13, v2, vcc_lo
	s_delay_alu instid0(VALU_DEP_3) | instskip(NEXT) | instid1(VALU_DEP_4)
	v_add_co_u32 v5, vcc_lo, s8, v3
	v_add_co_ci_u32_e32 v6, vcc_lo, s9, v4, vcc_lo
	global_load_b128 v[1:4], v[1:2], off
	global_load_b32 v10, v[5:6], off
	s_waitcnt vmcnt(1)
	v_lshlrev_b32_e32 v9, 16, v1
	s_waitcnt vmcnt(0)
	v_lshlrev_b32_e32 v11, 16, v10
	s_delay_alu instid0(VALU_DEP_1) | instskip(NEXT) | instid1(VALU_DEP_1)
	v_add_f32_e32 v11, v9, v11
	v_and_b32_e32 v9, 0x7f800000, v11
	s_delay_alu instid0(VALU_DEP_1) | instskip(SKIP_1) | instid1(SALU_CYCLE_1)
	v_cmp_ne_u32_e32 vcc_lo, 0x7f800000, v9
                                        ; implicit-def: $vgpr9
	s_and_saveexec_b32 s20, vcc_lo
	s_xor_b32 s20, exec_lo, s20
; %bb.6:                                ;   in Loop: Header=BB35_5 Depth=1
	v_bfe_u32 v9, v11, 16, 1
	s_delay_alu instid0(VALU_DEP_1)
	v_add3_u32 v9, v11, v9, 0x7fff
                                        ; implicit-def: $vgpr11
; %bb.7:                                ;   in Loop: Header=BB35_5 Depth=1
	s_and_not1_saveexec_b32 s20, s20
; %bb.8:                                ;   in Loop: Header=BB35_5 Depth=1
	v_and_b32_e32 v9, 0xffff, v11
	v_or_b32_e32 v12, 0x10000, v11
	s_delay_alu instid0(VALU_DEP_2) | instskip(NEXT) | instid1(VALU_DEP_2)
	v_cmp_eq_u32_e32 vcc_lo, 0, v9
	v_cndmask_b32_e32 v9, v12, v11, vcc_lo
; %bb.9:                                ;   in Loop: Header=BB35_5 Depth=1
	s_or_b32 exec_lo, exec_lo, s20
	v_and_b32_e32 v1, 0xffff0000, v1
	v_and_b32_e32 v10, 0xffff0000, v10
	s_delay_alu instid0(VALU_DEP_1) | instskip(NEXT) | instid1(VALU_DEP_1)
	v_add_f32_e32 v10, v1, v10
	v_and_b32_e32 v1, 0x7f800000, v10
	s_delay_alu instid0(VALU_DEP_1) | instskip(SKIP_1) | instid1(SALU_CYCLE_1)
	v_cmp_ne_u32_e32 vcc_lo, 0x7f800000, v1
                                        ; implicit-def: $vgpr1
	s_and_saveexec_b32 s20, vcc_lo
	s_xor_b32 s20, exec_lo, s20
; %bb.10:                               ;   in Loop: Header=BB35_5 Depth=1
	v_bfe_u32 v1, v10, 16, 1
	s_delay_alu instid0(VALU_DEP_1)
	v_add3_u32 v1, v10, v1, 0x7fff
                                        ; implicit-def: $vgpr10
; %bb.11:                               ;   in Loop: Header=BB35_5 Depth=1
	s_and_not1_saveexec_b32 s20, s20
; %bb.12:                               ;   in Loop: Header=BB35_5 Depth=1
	v_and_b32_e32 v1, 0xffff, v10
	v_or_b32_e32 v11, 0x10000, v10
	s_delay_alu instid0(VALU_DEP_2) | instskip(NEXT) | instid1(VALU_DEP_2)
	v_cmp_eq_u32_e32 vcc_lo, 0, v1
	v_cndmask_b32_e32 v1, v11, v10, vcc_lo
; %bb.13:                               ;   in Loop: Header=BB35_5 Depth=1
	s_or_b32 exec_lo, exec_lo, s20
	global_load_b32 v11, v[5:6], off offset:4
	v_lshlrev_b32_e32 v10, 16, v2
	s_waitcnt vmcnt(0)
	v_lshlrev_b32_e32 v12, 16, v11
	s_delay_alu instid0(VALU_DEP_1) | instskip(NEXT) | instid1(VALU_DEP_1)
	v_add_f32_e32 v12, v10, v12
	v_and_b32_e32 v10, 0x7f800000, v12
	s_delay_alu instid0(VALU_DEP_1) | instskip(SKIP_1) | instid1(SALU_CYCLE_1)
	v_cmp_ne_u32_e32 vcc_lo, 0x7f800000, v10
                                        ; implicit-def: $vgpr10
	s_and_saveexec_b32 s20, vcc_lo
	s_xor_b32 s20, exec_lo, s20
; %bb.14:                               ;   in Loop: Header=BB35_5 Depth=1
	v_bfe_u32 v10, v12, 16, 1
	s_delay_alu instid0(VALU_DEP_1)
	v_add3_u32 v10, v12, v10, 0x7fff
                                        ; implicit-def: $vgpr12
; %bb.15:                               ;   in Loop: Header=BB35_5 Depth=1
	s_and_not1_saveexec_b32 s20, s20
; %bb.16:                               ;   in Loop: Header=BB35_5 Depth=1
	v_and_b32_e32 v10, 0xffff, v12
	v_or_b32_e32 v13, 0x10000, v12
	s_delay_alu instid0(VALU_DEP_2) | instskip(NEXT) | instid1(VALU_DEP_2)
	v_cmp_eq_u32_e32 vcc_lo, 0, v10
	v_cndmask_b32_e32 v10, v13, v12, vcc_lo
; %bb.17:                               ;   in Loop: Header=BB35_5 Depth=1
	s_or_b32 exec_lo, exec_lo, s20
	v_and_b32_e32 v2, 0xffff0000, v2
	v_and_b32_e32 v11, 0xffff0000, v11
	s_delay_alu instid0(VALU_DEP_1) | instskip(NEXT) | instid1(VALU_DEP_1)
	v_add_f32_e32 v11, v2, v11
	v_and_b32_e32 v2, 0x7f800000, v11
	s_delay_alu instid0(VALU_DEP_1) | instskip(SKIP_1) | instid1(SALU_CYCLE_1)
	v_cmp_ne_u32_e32 vcc_lo, 0x7f800000, v2
                                        ; implicit-def: $vgpr2
	s_and_saveexec_b32 s20, vcc_lo
	s_xor_b32 s20, exec_lo, s20
; %bb.18:                               ;   in Loop: Header=BB35_5 Depth=1
	v_bfe_u32 v2, v11, 16, 1
	s_delay_alu instid0(VALU_DEP_1)
	v_add3_u32 v2, v11, v2, 0x7fff
                                        ; implicit-def: $vgpr11
; %bb.19:                               ;   in Loop: Header=BB35_5 Depth=1
	s_and_not1_saveexec_b32 s20, s20
; %bb.20:                               ;   in Loop: Header=BB35_5 Depth=1
	v_and_b32_e32 v2, 0xffff, v11
	v_or_b32_e32 v12, 0x10000, v11
	s_delay_alu instid0(VALU_DEP_2) | instskip(NEXT) | instid1(VALU_DEP_2)
	v_cmp_eq_u32_e32 vcc_lo, 0, v2
	v_cndmask_b32_e32 v2, v12, v11, vcc_lo
; %bb.21:                               ;   in Loop: Header=BB35_5 Depth=1
	s_or_b32 exec_lo, exec_lo, s20
	global_load_b32 v12, v[5:6], off offset:8
	v_lshlrev_b32_e32 v11, 16, v3
	s_waitcnt vmcnt(0)
	v_lshlrev_b32_e32 v13, 16, v12
	s_delay_alu instid0(VALU_DEP_1) | instskip(NEXT) | instid1(VALU_DEP_1)
	v_add_f32_e32 v13, v11, v13
	v_and_b32_e32 v11, 0x7f800000, v13
	s_delay_alu instid0(VALU_DEP_1) | instskip(SKIP_1) | instid1(SALU_CYCLE_1)
	v_cmp_ne_u32_e32 vcc_lo, 0x7f800000, v11
                                        ; implicit-def: $vgpr11
	s_and_saveexec_b32 s20, vcc_lo
	s_xor_b32 s20, exec_lo, s20
; %bb.22:                               ;   in Loop: Header=BB35_5 Depth=1
	v_bfe_u32 v11, v13, 16, 1
	s_delay_alu instid0(VALU_DEP_1)
	v_add3_u32 v11, v13, v11, 0x7fff
                                        ; implicit-def: $vgpr13
; %bb.23:                               ;   in Loop: Header=BB35_5 Depth=1
	s_and_not1_saveexec_b32 s20, s20
; %bb.24:                               ;   in Loop: Header=BB35_5 Depth=1
	v_and_b32_e32 v11, 0xffff, v13
	v_or_b32_e32 v14, 0x10000, v13
	s_delay_alu instid0(VALU_DEP_2) | instskip(NEXT) | instid1(VALU_DEP_2)
	v_cmp_eq_u32_e32 vcc_lo, 0, v11
	v_cndmask_b32_e32 v11, v14, v13, vcc_lo
; %bb.25:                               ;   in Loop: Header=BB35_5 Depth=1
	s_or_b32 exec_lo, exec_lo, s20
	v_and_b32_e32 v3, 0xffff0000, v3
	v_and_b32_e32 v12, 0xffff0000, v12
	s_delay_alu instid0(VALU_DEP_1) | instskip(NEXT) | instid1(VALU_DEP_1)
	v_add_f32_e32 v12, v3, v12
	v_and_b32_e32 v3, 0x7f800000, v12
	s_delay_alu instid0(VALU_DEP_1) | instskip(SKIP_1) | instid1(SALU_CYCLE_1)
	v_cmp_ne_u32_e32 vcc_lo, 0x7f800000, v3
                                        ; implicit-def: $vgpr3
	s_and_saveexec_b32 s20, vcc_lo
	s_xor_b32 s20, exec_lo, s20
; %bb.26:                               ;   in Loop: Header=BB35_5 Depth=1
	v_bfe_u32 v3, v12, 16, 1
	s_delay_alu instid0(VALU_DEP_1)
	v_add3_u32 v3, v12, v3, 0x7fff
                                        ; implicit-def: $vgpr12
; %bb.27:                               ;   in Loop: Header=BB35_5 Depth=1
	s_and_not1_saveexec_b32 s20, s20
; %bb.28:                               ;   in Loop: Header=BB35_5 Depth=1
	v_and_b32_e32 v3, 0xffff, v12
	v_or_b32_e32 v13, 0x10000, v12
	s_delay_alu instid0(VALU_DEP_2) | instskip(NEXT) | instid1(VALU_DEP_2)
	v_cmp_eq_u32_e32 vcc_lo, 0, v3
	v_cndmask_b32_e32 v3, v13, v12, vcc_lo
; %bb.29:                               ;   in Loop: Header=BB35_5 Depth=1
	s_or_b32 exec_lo, exec_lo, s20
	global_load_b32 v13, v[5:6], off offset:12
	v_lshlrev_b32_e32 v12, 16, v4
	s_waitcnt vmcnt(0)
	v_lshlrev_b32_e32 v14, 16, v13
	s_delay_alu instid0(VALU_DEP_1) | instskip(NEXT) | instid1(VALU_DEP_1)
	v_add_f32_e32 v14, v12, v14
	v_and_b32_e32 v12, 0x7f800000, v14
	s_delay_alu instid0(VALU_DEP_1) | instskip(SKIP_1) | instid1(SALU_CYCLE_1)
	v_cmp_ne_u32_e32 vcc_lo, 0x7f800000, v12
                                        ; implicit-def: $vgpr12
	s_and_saveexec_b32 s20, vcc_lo
	s_xor_b32 s20, exec_lo, s20
; %bb.30:                               ;   in Loop: Header=BB35_5 Depth=1
	v_bfe_u32 v12, v14, 16, 1
	s_delay_alu instid0(VALU_DEP_1)
	v_add3_u32 v12, v14, v12, 0x7fff
                                        ; implicit-def: $vgpr14
; %bb.31:                               ;   in Loop: Header=BB35_5 Depth=1
	s_and_not1_saveexec_b32 s20, s20
; %bb.32:                               ;   in Loop: Header=BB35_5 Depth=1
	v_and_b32_e32 v12, 0xffff, v14
	v_or_b32_e32 v15, 0x10000, v14
	s_delay_alu instid0(VALU_DEP_2) | instskip(NEXT) | instid1(VALU_DEP_2)
	v_cmp_eq_u32_e32 vcc_lo, 0, v12
	v_cndmask_b32_e32 v12, v15, v14, vcc_lo
; %bb.33:                               ;   in Loop: Header=BB35_5 Depth=1
	s_or_b32 exec_lo, exec_lo, s20
	v_and_b32_e32 v4, 0xffff0000, v4
	v_and_b32_e32 v13, 0xffff0000, v13
	s_delay_alu instid0(VALU_DEP_1) | instskip(NEXT) | instid1(VALU_DEP_1)
	v_add_f32_e32 v13, v4, v13
	v_and_b32_e32 v4, 0x7f800000, v13
	s_delay_alu instid0(VALU_DEP_1) | instskip(SKIP_1) | instid1(SALU_CYCLE_1)
	v_cmp_ne_u32_e32 vcc_lo, 0x7f800000, v4
                                        ; implicit-def: $vgpr4
	s_and_saveexec_b32 s20, vcc_lo
	s_xor_b32 s20, exec_lo, s20
; %bb.34:                               ;   in Loop: Header=BB35_5 Depth=1
	v_bfe_u32 v4, v13, 16, 1
	s_delay_alu instid0(VALU_DEP_1)
	v_add3_u32 v4, v13, v4, 0x7fff
                                        ; implicit-def: $vgpr13
; %bb.35:                               ;   in Loop: Header=BB35_5 Depth=1
	s_and_not1_saveexec_b32 s20, s20
	s_cbranch_execz .LBB35_4
; %bb.36:                               ;   in Loop: Header=BB35_5 Depth=1
	v_and_b32_e32 v4, 0xffff, v13
	v_or_b32_e32 v14, 0x10000, v13
	s_delay_alu instid0(VALU_DEP_2) | instskip(NEXT) | instid1(VALU_DEP_2)
	v_cmp_eq_u32_e32 vcc_lo, 0, v4
	v_cndmask_b32_e32 v4, v14, v13, vcc_lo
	s_branch .LBB35_4
.LBB35_37:
	s_or_b32 exec_lo, exec_lo, s15
	v_mov_b32_e32 v9, s18
.LBB35_38:
	s_or_b32 exec_lo, exec_lo, s17
	v_mbcnt_lo_u32_b32 v1, -1, 0
	v_and_b32_e32 v3, 0x3e0, v0
	s_mov_b32 s12, exec_lo
	s_delay_alu instid0(VALU_DEP_2) | instskip(NEXT) | instid1(VALU_DEP_2)
	v_cmp_ne_u32_e32 vcc_lo, 31, v1
	v_sub_nc_u32_e64 v13, v9, v3 clamp
	v_add_nc_u32_e32 v3, 1, v1
	v_add_co_ci_u32_e32 v2, vcc_lo, 0, v1, vcc_lo
	v_cmp_gt_u32_e32 vcc_lo, 30, v1
	s_delay_alu instid0(VALU_DEP_2)
	v_lshlrev_b32_e32 v2, 2, v2
	v_cndmask_b32_e64 v5, 0, 1, vcc_lo
	v_cmp_lt_u32_e32 vcc_lo, v3, v13
	ds_bpermute_b32 v4, v2, v7
	s_waitcnt lgkmcnt(0)
	v_dual_add_f32 v6, v7, v4 :: v_dual_lshlrev_b32 v5, 1, v5
	s_delay_alu instid0(VALU_DEP_1) | instskip(NEXT) | instid1(VALU_DEP_2)
	v_add_lshl_u32 v4, v5, v1, 2
	v_cndmask_b32_e32 v7, v7, v6, vcc_lo
	v_cmp_gt_u32_e32 vcc_lo, 28, v1
	v_cndmask_b32_e64 v5, 0, 1, vcc_lo
	s_delay_alu instid0(VALU_DEP_1) | instskip(SKIP_2) | instid1(VALU_DEP_1)
	v_lshlrev_b32_e32 v8, 2, v5
	ds_bpermute_b32 v6, v4, v7
	v_add_nc_u32_e32 v5, 2, v1
	v_cmp_lt_u32_e32 vcc_lo, v5, v13
	s_waitcnt lgkmcnt(0)
	v_add_f32_e32 v10, v7, v6
	v_add_lshl_u32 v6, v8, v1, 2
	s_delay_alu instid0(VALU_DEP_2) | instskip(SKIP_4) | instid1(VALU_DEP_1)
	v_cndmask_b32_e32 v10, v7, v10, vcc_lo
	v_cmp_gt_u32_e32 vcc_lo, 24, v1
	ds_bpermute_b32 v8, v6, v10
	v_cndmask_b32_e64 v7, 0, 1, vcc_lo
	s_waitcnt lgkmcnt(0)
	v_dual_add_f32 v12, v10, v8 :: v_dual_lshlrev_b32 v11, 3, v7
	v_add_nc_u32_e32 v7, 4, v1
	s_delay_alu instid0(VALU_DEP_1) | instskip(NEXT) | instid1(VALU_DEP_3)
	v_cmp_lt_u32_e32 vcc_lo, v7, v13
	v_cndmask_b32_e32 v12, v10, v12, vcc_lo
	s_delay_alu instid0(VALU_DEP_4) | instskip(SKIP_3) | instid1(VALU_DEP_1)
	v_add_lshl_u32 v8, v11, v1, 2
	v_cmp_gt_u32_e32 vcc_lo, 16, v1
	ds_bpermute_b32 v11, v8, v12
	v_cndmask_b32_e64 v10, 0, 1, vcc_lo
	v_lshlrev_b32_e32 v14, 4, v10
	v_add_nc_u32_e32 v10, 8, v1
	s_delay_alu instid0(VALU_DEP_1) | instskip(SKIP_3) | instid1(VALU_DEP_2)
	v_cmp_lt_u32_e32 vcc_lo, v10, v13
	s_waitcnt lgkmcnt(0)
	v_add_f32_e32 v15, v12, v11
	v_add_lshl_u32 v11, v14, v1, 2
	v_cndmask_b32_e32 v14, v12, v15, vcc_lo
	ds_bpermute_b32 v15, v11, v14
	s_waitcnt lgkmcnt(0)
	v_dual_add_f32 v15, v14, v15 :: v_dual_add_nc_u32 v12, 16, v1
	s_delay_alu instid0(VALU_DEP_1) | instskip(NEXT) | instid1(VALU_DEP_2)
	v_cmp_lt_u32_e32 vcc_lo, v12, v13
	v_cndmask_b32_e32 v13, v14, v15, vcc_lo
	v_cmpx_eq_u32_e32 0, v1
	s_cbranch_execz .LBB35_40
; %bb.39:
	v_lshrrev_b32_e32 v14, 3, v0
	s_delay_alu instid0(VALU_DEP_1)
	v_and_b32_e32 v14, 0x7c, v14
	ds_store_b32 v14, v13
.LBB35_40:
	s_or_b32 exec_lo, exec_lo, s12
	s_delay_alu instid0(SALU_CYCLE_1)
	s_mov_b32 s12, exec_lo
	s_waitcnt lgkmcnt(0)
	s_waitcnt_vscnt null, 0x0
	s_barrier
	buffer_gl0_inv
	v_cmpx_gt_u32_e32 32, v0
	s_cbranch_execz .LBB35_42
; %bb.41:
	v_lshlrev_b32_e32 v1, 2, v1
	ds_load_b32 v1, v1
	s_waitcnt lgkmcnt(0)
	ds_bpermute_b32 v2, v2, v1
	s_waitcnt lgkmcnt(0)
	v_dual_add_f32 v2, v1, v2 :: v_dual_add_nc_u32 v13, 31, v9
	s_delay_alu instid0(VALU_DEP_1) | instskip(NEXT) | instid1(VALU_DEP_1)
	v_lshrrev_b32_e32 v13, 5, v13
	v_cmp_lt_u32_e32 vcc_lo, v3, v13
	s_delay_alu instid0(VALU_DEP_3) | instskip(SKIP_4) | instid1(VALU_DEP_1)
	v_cndmask_b32_e32 v1, v1, v2, vcc_lo
	v_cmp_lt_u32_e32 vcc_lo, v5, v13
	ds_bpermute_b32 v2, v4, v1
	s_waitcnt lgkmcnt(0)
	v_add_f32_e32 v2, v1, v2
	v_cndmask_b32_e32 v1, v1, v2, vcc_lo
	v_cmp_lt_u32_e32 vcc_lo, v7, v13
	ds_bpermute_b32 v2, v6, v1
	s_waitcnt lgkmcnt(0)
	v_add_f32_e32 v2, v1, v2
	s_delay_alu instid0(VALU_DEP_1) | instskip(SKIP_4) | instid1(VALU_DEP_1)
	v_cndmask_b32_e32 v1, v1, v2, vcc_lo
	v_cmp_lt_u32_e32 vcc_lo, v10, v13
	ds_bpermute_b32 v2, v8, v1
	s_waitcnt lgkmcnt(0)
	v_add_f32_e32 v2, v1, v2
	v_cndmask_b32_e32 v1, v1, v2, vcc_lo
	v_cmp_lt_u32_e32 vcc_lo, v12, v13
	ds_bpermute_b32 v2, v11, v1
	s_waitcnt lgkmcnt(0)
	v_add_f32_e32 v2, v1, v2
	s_delay_alu instid0(VALU_DEP_1)
	v_cndmask_b32_e32 v13, v1, v2, vcc_lo
.LBB35_42:
	s_or_b32 exec_lo, exec_lo, s12
	s_delay_alu instid0(SALU_CYCLE_1)
	s_mov_b32 s12, exec_lo
	v_cmpx_eq_u32_e32 0, v0
	s_cbranch_execz .LBB35_44
; %bb.43:
	v_cvt_f32_i32_e32 v1, s16
	s_load_b32 s0, s[0:1], 0x30
	s_delay_alu instid0(VALU_DEP_1) | instskip(SKIP_1) | instid1(VALU_DEP_2)
	v_div_scale_f32 v2, null, v1, v1, v13
	v_div_scale_f32 v5, vcc_lo, v13, v1, v13
	v_rcp_f32_e32 v3, v2
	s_waitcnt_depctr 0xfff
	v_fma_f32 v4, -v2, v3, 1.0
	s_delay_alu instid0(VALU_DEP_1) | instskip(NEXT) | instid1(VALU_DEP_1)
	v_fmac_f32_e32 v3, v4, v3
	v_mul_f32_e32 v4, v5, v3
	s_delay_alu instid0(VALU_DEP_1) | instskip(NEXT) | instid1(VALU_DEP_1)
	v_fma_f32 v6, -v2, v4, v5
	v_fmac_f32_e32 v4, v6, v3
	s_delay_alu instid0(VALU_DEP_1) | instskip(NEXT) | instid1(VALU_DEP_1)
	v_fma_f32 v2, -v2, v4, v5
	v_div_fmas_f32 v2, v2, v3, v4
	s_delay_alu instid0(VALU_DEP_1) | instskip(SKIP_1) | instid1(VALU_DEP_1)
	v_div_fixup_f32 v1, v2, v1, v13
	s_waitcnt lgkmcnt(0)
	v_add_f32_e32 v1, s0, v1
	s_delay_alu instid0(VALU_DEP_1) | instskip(SKIP_1) | instid1(VALU_DEP_2)
	v_mul_f32_e32 v2, 0x4b800000, v1
	v_cmp_gt_f32_e32 vcc_lo, 0x800000, v1
	v_cndmask_b32_e32 v1, v1, v2, vcc_lo
	s_delay_alu instid0(VALU_DEP_1) | instskip(SKIP_2) | instid1(VALU_DEP_1)
	v_rsq_f32_e32 v1, v1
	s_waitcnt_depctr 0xfff
	v_mul_f32_e32 v2, 0x45800000, v1
	v_dual_cndmask_b32 v1, v1, v2 :: v_dual_mov_b32 v2, 0
	ds_store_b32 v2, v1 offset:128
.LBB35_44:
	s_or_b32 exec_lo, exec_lo, s12
	s_waitcnt lgkmcnt(0)
	s_barrier
	buffer_gl0_inv
	s_and_saveexec_b32 s0, s2
	s_cbranch_execz .LBB35_191
; %bb.45:
	s_load_b32 s0, s[6:7], 0x0
	v_add_lshl_u32 v20, v0, s14, 3
	v_lshlrev_b32_e32 v21, 3, v9
	s_mov_b32 s2, 0
	v_mov_b32_e32 v11, 0
	ds_load_b32 v22, v11 offset:128
	v_mov_b32_e32 v10, v11
	s_delay_alu instid0(VALU_DEP_1) | instskip(SKIP_3) | instid1(VALU_DEP_2)
	v_lshlrev_b64 v[12:13], 4, v[9:10]
	s_waitcnt lgkmcnt(0)
	v_div_scale_f32 v1, null, s0, s0, 1.0
	v_div_scale_f32 v4, vcc_lo, 1.0, s0, 1.0
	v_rcp_f32_e32 v2, v1
	s_waitcnt_depctr 0xfff
	v_fma_f32 v3, -v1, v2, 1.0
	s_delay_alu instid0(VALU_DEP_1) | instskip(NEXT) | instid1(VALU_DEP_1)
	v_fmac_f32_e32 v2, v3, v2
	v_mul_f32_e32 v3, v4, v2
	s_delay_alu instid0(VALU_DEP_1) | instskip(NEXT) | instid1(VALU_DEP_1)
	v_fma_f32 v5, -v1, v3, v4
	v_fmac_f32_e32 v3, v5, v2
	s_delay_alu instid0(VALU_DEP_1) | instskip(SKIP_1) | instid1(VALU_DEP_2)
	v_fma_f32 v1, -v1, v3, v4
	v_lshlrev_b32_e32 v4, 4, v0
	v_div_fmas_f32 v1, v1, v2, v3
	s_delay_alu instid0(VALU_DEP_2) | instskip(NEXT) | instid1(VALU_DEP_1)
	v_add_co_u32 v2, s1, v4, s4
	v_add_co_ci_u32_e64 v3, null, 0, s5, s1
	s_delay_alu instid0(VALU_DEP_3) | instskip(NEXT) | instid1(VALU_DEP_3)
	v_div_fixup_f32 v23, v1, s0, 1.0
	v_add_co_u32 v14, vcc_lo, v2, 14
	s_delay_alu instid0(VALU_DEP_3)
	v_add_co_ci_u32_e32 v15, vcc_lo, 0, v3, vcc_lo
	s_mov_b32 s4, 0x43600000
	s_branch .LBB35_50
.LBB35_46:                              ;   in Loop: Header=BB35_50 Depth=1
	s_or_b32 exec_lo, exec_lo, s0
	s_delay_alu instid0(VALU_DEP_2) | instskip(NEXT) | instid1(VALU_DEP_2)
	v_lshrrev_b64 v[1:2], 20, v[1:2]
	v_cmp_gt_i32_e32 vcc_lo, 16, v4
	v_and_b32_e32 v3, 0x80, v3
	v_min_i32_e32 v5, 15, v4
	v_cmp_eq_u32_e64 s0, 0, v4
	v_dual_cndmask_b32 v2, 0, v2 :: v_dual_cndmask_b32 v1, 7, v1
	s_delay_alu instid0(VALU_DEP_3) | instskip(NEXT) | instid1(VALU_DEP_2)
	v_lshl_or_b32 v3, v5, 3, v3
	v_cmp_eq_u64_e32 vcc_lo, 0, v[1:2]
	s_delay_alu instid0(VALU_DEP_2)
	v_and_or_b32 v1, v1, 7, v3
	s_and_b32 s0, s0, vcc_lo
	s_delay_alu instid0(VALU_DEP_1) | instid1(SALU_CYCLE_1)
	v_cndmask_b32_e64 v1, v1, 0, s0
.LBB35_47:                              ;   in Loop: Header=BB35_50 Depth=1
	s_or_b32 exec_lo, exec_lo, s7
.LBB35_48:                              ;   in Loop: Header=BB35_50 Depth=1
	s_and_not1_saveexec_b32 s0, s6
	s_delay_alu instid0(SALU_CYCLE_1)
	s_or_b32 exec_lo, exec_lo, s0
.LBB35_49:                              ;   in Loop: Header=BB35_50 Depth=1
	s_and_not1_saveexec_b32 s0, s5
	s_delay_alu instid0(SALU_CYCLE_1) | instskip(SKIP_4) | instid1(VALU_DEP_4)
	s_or_b32 exec_lo, exec_lo, s0
	v_add_nc_u32_e32 v0, v0, v9
	v_add_co_u32 v14, s0, v14, v12
	v_add_nc_u32_e32 v20, v20, v21
	v_add_co_ci_u32_e64 v15, s0, v15, v13, s0
	v_cmp_le_i32_e32 vcc_lo, s3, v0
	global_store_b8 v[16:17], v1, off offset:7
	s_or_b32 s2, vcc_lo, s2
	s_delay_alu instid0(SALU_CYCLE_1)
	s_and_not1_b32 exec_lo, exec_lo, s2
	s_cbranch_execz .LBB35_191
.LBB35_50:                              ; =>This Inner Loop Header: Depth=1
	v_add_nc_u32_e32 v1, s14, v0
	s_delay_alu instid0(VALU_DEP_1) | instskip(NEXT) | instid1(VALU_DEP_1)
	v_ashrrev_i32_e32 v2, 31, v1
	v_lshlrev_b64 v[1:2], 4, v[1:2]
	s_delay_alu instid0(VALU_DEP_1) | instskip(NEXT) | instid1(VALU_DEP_2)
	v_add_co_u32 v1, vcc_lo, s8, v1
	v_add_co_ci_u32_e32 v2, vcc_lo, s9, v2, vcc_lo
	global_load_b128 v[5:8], v[1:2], off
	global_load_b128 v[1:4], v[14:15], off offset:-14
	s_waitcnt vmcnt(1)
	v_lshlrev_b32_e32 v10, 16, v5
	s_delay_alu instid0(VALU_DEP_1) | instskip(NEXT) | instid1(VALU_DEP_1)
	v_mul_f32_e32 v10, v22, v10
	v_and_b32_e32 v16, 0x7f800000, v10
	s_delay_alu instid0(VALU_DEP_1) | instskip(SKIP_1) | instid1(SALU_CYCLE_1)
	v_cmp_ne_u32_e32 vcc_lo, 0x7f800000, v16
                                        ; implicit-def: $vgpr16
	s_and_saveexec_b32 s0, vcc_lo
	s_xor_b32 s0, exec_lo, s0
; %bb.51:                               ;   in Loop: Header=BB35_50 Depth=1
	v_bfe_u32 v16, v10, 16, 1
	s_delay_alu instid0(VALU_DEP_1)
	v_add3_u32 v16, v10, v16, 0x7fff
                                        ; implicit-def: $vgpr10
; %bb.52:                               ;   in Loop: Header=BB35_50 Depth=1
	s_and_not1_saveexec_b32 s0, s0
; %bb.53:                               ;   in Loop: Header=BB35_50 Depth=1
	v_and_b32_e32 v16, 0xffff, v10
	v_or_b32_e32 v17, 0x10000, v10
	s_delay_alu instid0(VALU_DEP_2) | instskip(NEXT) | instid1(VALU_DEP_2)
	v_cmp_eq_u32_e32 vcc_lo, 0, v16
	v_cndmask_b32_e32 v16, v17, v10, vcc_lo
; %bb.54:                               ;   in Loop: Header=BB35_50 Depth=1
	s_or_b32 exec_lo, exec_lo, s0
	s_delay_alu instid0(VALU_DEP_1) | instskip(SKIP_2) | instid1(VALU_DEP_1)
	v_and_b32_e32 v10, 0xffff0000, v16
	s_waitcnt vmcnt(0)
	v_lshlrev_b32_e32 v16, 16, v1
	v_mul_f32_e32 v10, v10, v16
	s_delay_alu instid0(VALU_DEP_1) | instskip(NEXT) | instid1(VALU_DEP_1)
	v_and_b32_e32 v16, 0x7f800000, v10
	v_cmp_ne_u32_e32 vcc_lo, 0x7f800000, v16
                                        ; implicit-def: $vgpr16
	s_and_saveexec_b32 s0, vcc_lo
	s_delay_alu instid0(SALU_CYCLE_1)
	s_xor_b32 s0, exec_lo, s0
; %bb.55:                               ;   in Loop: Header=BB35_50 Depth=1
	v_bfe_u32 v16, v10, 16, 1
	s_delay_alu instid0(VALU_DEP_1)
	v_add3_u32 v16, v10, v16, 0x7fff
                                        ; implicit-def: $vgpr10
; %bb.56:                               ;   in Loop: Header=BB35_50 Depth=1
	s_and_not1_saveexec_b32 s0, s0
; %bb.57:                               ;   in Loop: Header=BB35_50 Depth=1
	v_and_b32_e32 v16, 0xffff, v10
	v_or_b32_e32 v17, 0x10000, v10
	s_delay_alu instid0(VALU_DEP_2) | instskip(NEXT) | instid1(VALU_DEP_2)
	v_cmp_eq_u32_e32 vcc_lo, 0, v16
	v_cndmask_b32_e32 v16, v17, v10, vcc_lo
; %bb.58:                               ;   in Loop: Header=BB35_50 Depth=1
	s_or_b32 exec_lo, exec_lo, s0
	s_delay_alu instid0(VALU_DEP_1) | instskip(SKIP_1) | instid1(VALU_DEP_1)
	v_and_b32_e32 v10, 0xffff0000, v16
	s_mov_b32 s0, exec_lo
	v_mul_f32_e32 v10, v23, v10
	s_delay_alu instid0(VALU_DEP_1) | instskip(NEXT) | instid1(VALU_DEP_1)
	v_minmax_f32 v16, v10, s4, 0xc3600000
	v_lshrrev_b32_e32 v18, 24, v16
	v_and_b32_e32 v10, 0x7f800000, v16
	s_delay_alu instid0(VALU_DEP_2) | instskip(NEXT) | instid1(VALU_DEP_2)
	v_or_b32_e32 v19, 0x7f, v18
	v_cmpx_ne_u64_e32 0x7f800000, v[10:11]
	s_xor_b32 s5, exec_lo, s0
	s_cbranch_execz .LBB35_68
; %bb.59:                               ;   in Loop: Header=BB35_50 Depth=1
	v_and_b32_e32 v10, 0x7fffffff, v16
	s_mov_b32 s0, exec_lo
	s_delay_alu instid0(VALU_DEP_1)
	v_cmpx_gt_u64_e32 0x43700001, v[10:11]
	s_xor_b32 s6, exec_lo, s0
	s_cbranch_execz .LBB35_67
; %bb.60:                               ;   in Loop: Header=BB35_50 Depth=1
	v_mov_b32_e32 v19, 0
	s_mov_b32 s7, exec_lo
	v_cmpx_ne_u32_e32 0, v16
	s_cbranch_execz .LBB35_66
; %bb.61:                               ;   in Loop: Header=BB35_50 Depth=1
	v_bfe_u32 v19, v16, 23, 8
	v_and_b32_e32 v16, 0x7fffff, v16
	s_delay_alu instid0(VALU_DEP_2) | instskip(SKIP_2) | instid1(VALU_DEP_3)
	v_sub_nc_u32_e64 v10, 0x78, v19 clamp
	v_cmp_eq_u32_e32 vcc_lo, 0, v19
	v_add_nc_u32_e32 v19, 0xffffff89, v19
	v_cndmask_b32_e64 v24, v10, 0x77, vcc_lo
	v_or_b32_e32 v10, 0x800000, v16
	s_delay_alu instid0(VALU_DEP_2) | instskip(NEXT) | instid1(VALU_DEP_2)
	v_add_nc_u32_e32 v17, 20, v24
	v_cndmask_b32_e32 v10, v10, v16, vcc_lo
	v_add_nc_u32_e32 v27, 19, v24
	s_delay_alu instid0(VALU_DEP_3) | instskip(NEXT) | instid1(VALU_DEP_3)
	v_lshlrev_b64 v[16:17], v17, -1
	v_lshrrev_b64 v[25:26], v24, v[10:11]
	s_delay_alu instid0(VALU_DEP_3) | instskip(SKIP_1) | instid1(VALU_DEP_4)
	v_lshlrev_b64 v[27:28], v27, 1
	v_mov_b32_e32 v17, v11
	v_not_b32_e32 v16, v16
	s_delay_alu instid0(VALU_DEP_1) | instskip(SKIP_1) | instid1(VALU_DEP_2)
	v_and_b32_e32 v16, v10, v16
	v_and_b32_e32 v10, 0x100000, v25
	v_cmp_eq_u64_e64 s0, v[16:17], v[27:28]
	s_delay_alu instid0(VALU_DEP_2) | instskip(SKIP_2) | instid1(VALU_DEP_3)
	v_cmp_eq_u64_e64 s1, 0, v[10:11]
	v_cndmask_b32_e64 v10, v19, 0xffffff8a, vcc_lo
	v_lshrrev_b32_e32 v16, 23, v25
	s_and_b32 vcc_lo, s1, s0
	s_delay_alu instid0(VALU_DEP_1) | instskip(SKIP_2) | instid1(VALU_DEP_2)
	v_add3_u32 v19, v10, v24, v16
	v_subrev_co_ci_u32_e32 v17, vcc_lo, 0, v25, vcc_lo
	s_mov_b32 s0, exec_lo
	v_add_nc_u32_e32 v24, -1, v19
	s_delay_alu instid0(VALU_DEP_2) | instskip(NEXT) | instid1(VALU_DEP_1)
	v_and_b32_e32 v10, 0xfffff, v17
	v_add_co_u32 v16, vcc_lo, v10, v25
	v_add_co_ci_u32_e32 v17, vcc_lo, 0, v26, vcc_lo
                                        ; implicit-def: $vgpr10
	s_delay_alu instid0(VALU_DEP_4)
	v_cmpx_ne_u32_e32 0, v24
	s_xor_b32 s0, exec_lo, s0
; %bb.62:                               ;   in Loop: Header=BB35_50 Depth=1
	s_delay_alu instid0(VALU_DEP_3) | instskip(SKIP_1) | instid1(VALU_DEP_2)
	v_and_b32_e32 v10, 0x1000000, v16
	v_bfe_u32 v25, v16, 24, 1
	v_cmp_eq_u64_e32 vcc_lo, 0, v[10:11]
	s_delay_alu instid0(VALU_DEP_2)
	v_lshrrev_b64 v[16:17], v25, v[16:17]
	v_cndmask_b32_e32 v10, v19, v24, vcc_lo
; %bb.63:                               ;   in Loop: Header=BB35_50 Depth=1
	s_and_not1_saveexec_b32 s0, s0
; %bb.64:                               ;   in Loop: Header=BB35_50 Depth=1
	s_delay_alu instid0(VALU_DEP_2)
	v_bfe_u32 v10, v16, 23, 1
; %bb.65:                               ;   in Loop: Header=BB35_50 Depth=1
	s_or_b32 exec_lo, exec_lo, s0
	s_delay_alu instid0(VALU_DEP_3) | instskip(NEXT) | instid1(VALU_DEP_2)
	v_lshrrev_b64 v[16:17], 20, v[16:17]
	v_cmp_gt_i32_e32 vcc_lo, 16, v10
	v_and_b32_e32 v18, 0x80, v18
	v_min_i32_e32 v19, 15, v10
	v_cmp_eq_u32_e64 s0, 0, v10
	v_dual_cndmask_b32 v17, 0, v17 :: v_dual_cndmask_b32 v16, 7, v16
	s_delay_alu instid0(VALU_DEP_3) | instskip(NEXT) | instid1(VALU_DEP_2)
	v_lshl_or_b32 v18, v19, 3, v18
	v_cmp_eq_u64_e32 vcc_lo, 0, v[16:17]
	s_delay_alu instid0(VALU_DEP_2)
	v_and_or_b32 v10, v16, 7, v18
	s_and_b32 s0, s0, vcc_lo
	s_delay_alu instid0(VALU_DEP_1) | instid1(SALU_CYCLE_1)
	v_cndmask_b32_e64 v19, v10, 0, s0
.LBB35_66:                              ;   in Loop: Header=BB35_50 Depth=1
	s_or_b32 exec_lo, exec_lo, s7
.LBB35_67:                              ;   in Loop: Header=BB35_50 Depth=1
	s_and_not1_saveexec_b32 s0, s6
	s_delay_alu instid0(SALU_CYCLE_1)
	s_or_b32 exec_lo, exec_lo, s0
.LBB35_68:                              ;   in Loop: Header=BB35_50 Depth=1
	s_and_not1_saveexec_b32 s0, s5
	s_delay_alu instid0(SALU_CYCLE_1) | instskip(SKIP_4) | instid1(VALU_DEP_3)
	s_or_b32 exec_lo, exec_lo, s0
	v_and_b32_e32 v5, 0xffff0000, v5
	v_ashrrev_i32_e32 v10, 31, v20
	v_add_co_u32 v16, vcc_lo, s10, v20
	s_mov_b32 s0, exec_lo
	v_mul_f32_e32 v5, v22, v5
	s_delay_alu instid0(VALU_DEP_3) | instskip(NEXT) | instid1(VALU_DEP_2)
	v_add_co_ci_u32_e32 v17, vcc_lo, s11, v10, vcc_lo
                                        ; implicit-def: $vgpr10
	v_and_b32_e32 v18, 0x7f800000, v5
	global_store_b8 v[16:17], v19, off
	v_cmpx_ne_u32_e32 0x7f800000, v18
	s_xor_b32 s0, exec_lo, s0
; %bb.69:                               ;   in Loop: Header=BB35_50 Depth=1
	v_bfe_u32 v10, v5, 16, 1
	s_delay_alu instid0(VALU_DEP_1)
	v_add3_u32 v10, v5, v10, 0x7fff
                                        ; implicit-def: $vgpr5
; %bb.70:                               ;   in Loop: Header=BB35_50 Depth=1
	s_and_not1_saveexec_b32 s0, s0
; %bb.71:                               ;   in Loop: Header=BB35_50 Depth=1
	v_and_b32_e32 v10, 0xffff, v5
	v_or_b32_e32 v18, 0x10000, v5
	s_delay_alu instid0(VALU_DEP_2) | instskip(NEXT) | instid1(VALU_DEP_2)
	v_cmp_eq_u32_e32 vcc_lo, 0, v10
	v_cndmask_b32_e32 v10, v18, v5, vcc_lo
; %bb.72:                               ;   in Loop: Header=BB35_50 Depth=1
	s_or_b32 exec_lo, exec_lo, s0
	s_delay_alu instid0(VALU_DEP_1) | instskip(SKIP_1) | instid1(VALU_DEP_1)
	v_and_b32_e32 v5, 0xffff0000, v10
	v_and_b32_e32 v1, 0xffff0000, v1
	v_mul_f32_e32 v1, v5, v1
	s_delay_alu instid0(VALU_DEP_1) | instskip(NEXT) | instid1(VALU_DEP_1)
	v_and_b32_e32 v5, 0x7f800000, v1
	v_cmp_ne_u32_e32 vcc_lo, 0x7f800000, v5
                                        ; implicit-def: $vgpr5
	s_and_saveexec_b32 s0, vcc_lo
	s_delay_alu instid0(SALU_CYCLE_1)
	s_xor_b32 s0, exec_lo, s0
; %bb.73:                               ;   in Loop: Header=BB35_50 Depth=1
	v_bfe_u32 v5, v1, 16, 1
	s_delay_alu instid0(VALU_DEP_1)
	v_add3_u32 v5, v1, v5, 0x7fff
                                        ; implicit-def: $vgpr1
; %bb.74:                               ;   in Loop: Header=BB35_50 Depth=1
	s_and_not1_saveexec_b32 s0, s0
; %bb.75:                               ;   in Loop: Header=BB35_50 Depth=1
	v_and_b32_e32 v5, 0xffff, v1
	v_or_b32_e32 v10, 0x10000, v1
	s_delay_alu instid0(VALU_DEP_2) | instskip(NEXT) | instid1(VALU_DEP_2)
	v_cmp_eq_u32_e32 vcc_lo, 0, v5
	v_cndmask_b32_e32 v5, v10, v1, vcc_lo
; %bb.76:                               ;   in Loop: Header=BB35_50 Depth=1
	s_or_b32 exec_lo, exec_lo, s0
	s_delay_alu instid0(VALU_DEP_1) | instskip(SKIP_1) | instid1(VALU_DEP_1)
	v_and_b32_e32 v1, 0xffff0000, v5
	s_mov_b32 s0, exec_lo
	v_mul_f32_e32 v1, v23, v1
	s_delay_alu instid0(VALU_DEP_1) | instskip(NEXT) | instid1(VALU_DEP_1)
	v_minmax_f32 v18, v1, s4, 0xc3600000
	v_and_b32_e32 v10, 0x7f800000, v18
	v_lshrrev_b32_e32 v1, 24, v18
	s_delay_alu instid0(VALU_DEP_1) | instskip(NEXT) | instid1(VALU_DEP_3)
	v_or_b32_e32 v5, 0x7f, v1
	v_cmpx_ne_u64_e32 0x7f800000, v[10:11]
	s_xor_b32 s5, exec_lo, s0
	s_cbranch_execz .LBB35_86
; %bb.77:                               ;   in Loop: Header=BB35_50 Depth=1
	v_and_b32_e32 v10, 0x7fffffff, v18
	s_mov_b32 s0, exec_lo
	s_delay_alu instid0(VALU_DEP_1)
	v_cmpx_gt_u64_e32 0x43700001, v[10:11]
	s_xor_b32 s6, exec_lo, s0
	s_cbranch_execz .LBB35_85
; %bb.78:                               ;   in Loop: Header=BB35_50 Depth=1
	v_mov_b32_e32 v5, 0
	s_mov_b32 s7, exec_lo
	v_cmpx_ne_u32_e32 0, v18
	s_cbranch_execz .LBB35_84
; %bb.79:                               ;   in Loop: Header=BB35_50 Depth=1
	v_bfe_u32 v5, v18, 23, 8
	v_and_b32_e32 v18, 0x7fffff, v18
	s_delay_alu instid0(VALU_DEP_2) | instskip(SKIP_2) | instid1(VALU_DEP_3)
	v_sub_nc_u32_e64 v10, 0x78, v5 clamp
	v_cmp_eq_u32_e32 vcc_lo, 0, v5
	v_add_nc_u32_e32 v5, 0xffffff89, v5
	v_cndmask_b32_e64 v28, v10, 0x77, vcc_lo
	v_or_b32_e32 v10, 0x800000, v18
	s_delay_alu instid0(VALU_DEP_3) | instskip(NEXT) | instid1(VALU_DEP_2)
	v_cndmask_b32_e64 v5, v5, 0xffffff8a, vcc_lo
	v_dual_cndmask_b32 v10, v10, v18 :: v_dual_add_nc_u32 v19, 20, v28
	v_add_nc_u32_e32 v24, 19, v28
	s_delay_alu instid0(VALU_DEP_2) | instskip(NEXT) | instid1(VALU_DEP_3)
	v_lshlrev_b64 v[18:19], v19, -1
	v_lshrrev_b64 v[26:27], v28, v[10:11]
	s_delay_alu instid0(VALU_DEP_3) | instskip(SKIP_1) | instid1(VALU_DEP_4)
	v_lshlrev_b64 v[24:25], v24, 1
	v_mov_b32_e32 v19, v11
	v_not_b32_e32 v18, v18
	s_delay_alu instid0(VALU_DEP_1) | instskip(SKIP_1) | instid1(VALU_DEP_2)
	v_and_b32_e32 v18, v10, v18
	v_and_b32_e32 v10, 0x100000, v26
	v_cmp_eq_u64_e64 s0, v[18:19], v[24:25]
	s_delay_alu instid0(VALU_DEP_2) | instskip(SKIP_1) | instid1(VALU_DEP_1)
	v_cmp_eq_u64_e64 s1, 0, v[10:11]
	v_lshrrev_b32_e32 v10, 23, v26
	v_add3_u32 v24, v5, v28, v10
	s_delay_alu instid0(VALU_DEP_3) | instskip(SKIP_2) | instid1(VALU_DEP_2)
	s_and_b32 vcc_lo, s1, s0
	s_mov_b32 s0, exec_lo
	v_subrev_co_ci_u32_e32 v18, vcc_lo, 0, v26, vcc_lo
	v_add_nc_u32_e32 v25, -1, v24
	s_delay_alu instid0(VALU_DEP_2) | instskip(NEXT) | instid1(VALU_DEP_1)
	v_and_b32_e32 v5, 0xfffff, v18
	v_add_co_u32 v18, vcc_lo, v5, v26
	v_add_co_ci_u32_e32 v19, vcc_lo, 0, v27, vcc_lo
                                        ; implicit-def: $vgpr5
	s_delay_alu instid0(VALU_DEP_4)
	v_cmpx_ne_u32_e32 0, v25
	s_xor_b32 s0, exec_lo, s0
; %bb.80:                               ;   in Loop: Header=BB35_50 Depth=1
	s_delay_alu instid0(VALU_DEP_3) | instskip(SKIP_1) | instid1(VALU_DEP_2)
	v_and_b32_e32 v10, 0x1000000, v18
	v_bfe_u32 v5, v18, 24, 1
	v_cmp_eq_u64_e32 vcc_lo, 0, v[10:11]
	s_delay_alu instid0(VALU_DEP_2)
	v_lshrrev_b64 v[18:19], v5, v[18:19]
	v_cndmask_b32_e32 v5, v24, v25, vcc_lo
; %bb.81:                               ;   in Loop: Header=BB35_50 Depth=1
	s_and_not1_saveexec_b32 s0, s0
; %bb.82:                               ;   in Loop: Header=BB35_50 Depth=1
	s_delay_alu instid0(VALU_DEP_2)
	v_bfe_u32 v5, v18, 23, 1
; %bb.83:                               ;   in Loop: Header=BB35_50 Depth=1
	s_or_b32 exec_lo, exec_lo, s0
	s_delay_alu instid0(VALU_DEP_3) | instskip(NEXT) | instid1(VALU_DEP_2)
	v_lshrrev_b64 v[18:19], 20, v[18:19]
	v_cmp_gt_i32_e32 vcc_lo, 16, v5
	v_and_b32_e32 v1, 0x80, v1
	v_min_i32_e32 v10, 15, v5
	v_cmp_eq_u32_e64 s0, 0, v5
	v_dual_cndmask_b32 v18, 7, v18 :: v_dual_cndmask_b32 v19, 0, v19
	s_delay_alu instid0(VALU_DEP_3) | instskip(NEXT) | instid1(VALU_DEP_2)
	v_lshl_or_b32 v1, v10, 3, v1
	v_cmp_eq_u64_e32 vcc_lo, 0, v[18:19]
	s_delay_alu instid0(VALU_DEP_2)
	v_and_or_b32 v1, v18, 7, v1
	s_and_b32 s0, s0, vcc_lo
	s_delay_alu instid0(VALU_DEP_1) | instid1(SALU_CYCLE_1)
	v_cndmask_b32_e64 v5, v1, 0, s0
.LBB35_84:                              ;   in Loop: Header=BB35_50 Depth=1
	s_or_b32 exec_lo, exec_lo, s7
.LBB35_85:                              ;   in Loop: Header=BB35_50 Depth=1
	s_and_not1_saveexec_b32 s0, s6
	s_delay_alu instid0(SALU_CYCLE_1)
	s_or_b32 exec_lo, exec_lo, s0
.LBB35_86:                              ;   in Loop: Header=BB35_50 Depth=1
	s_and_not1_saveexec_b32 s0, s5
	s_delay_alu instid0(SALU_CYCLE_1) | instskip(SKIP_4) | instid1(VALU_DEP_1)
	s_or_b32 exec_lo, exec_lo, s0
	v_lshlrev_b32_e32 v1, 16, v6
	s_mov_b32 s0, exec_lo
	global_store_b8 v[16:17], v5, off offset:1
                                        ; implicit-def: $vgpr5
	v_mul_f32_e32 v1, v22, v1
	v_and_b32_e32 v10, 0x7f800000, v1
	s_delay_alu instid0(VALU_DEP_1)
	v_cmpx_ne_u32_e32 0x7f800000, v10
	s_xor_b32 s0, exec_lo, s0
; %bb.87:                               ;   in Loop: Header=BB35_50 Depth=1
	v_bfe_u32 v5, v1, 16, 1
	s_delay_alu instid0(VALU_DEP_1)
	v_add3_u32 v5, v1, v5, 0x7fff
                                        ; implicit-def: $vgpr1
; %bb.88:                               ;   in Loop: Header=BB35_50 Depth=1
	s_and_not1_saveexec_b32 s0, s0
; %bb.89:                               ;   in Loop: Header=BB35_50 Depth=1
	v_and_b32_e32 v5, 0xffff, v1
	v_or_b32_e32 v10, 0x10000, v1
	s_delay_alu instid0(VALU_DEP_2) | instskip(NEXT) | instid1(VALU_DEP_2)
	v_cmp_eq_u32_e32 vcc_lo, 0, v5
	v_cndmask_b32_e32 v5, v10, v1, vcc_lo
; %bb.90:                               ;   in Loop: Header=BB35_50 Depth=1
	s_or_b32 exec_lo, exec_lo, s0
	s_delay_alu instid0(VALU_DEP_1) | instskip(SKIP_1) | instid1(VALU_DEP_1)
	v_and_b32_e32 v1, 0xffff0000, v5
	v_lshlrev_b32_e32 v5, 16, v2
	v_mul_f32_e32 v1, v1, v5
	s_delay_alu instid0(VALU_DEP_1) | instskip(NEXT) | instid1(VALU_DEP_1)
	v_and_b32_e32 v5, 0x7f800000, v1
	v_cmp_ne_u32_e32 vcc_lo, 0x7f800000, v5
                                        ; implicit-def: $vgpr5
	s_and_saveexec_b32 s0, vcc_lo
	s_delay_alu instid0(SALU_CYCLE_1)
	s_xor_b32 s0, exec_lo, s0
; %bb.91:                               ;   in Loop: Header=BB35_50 Depth=1
	v_bfe_u32 v5, v1, 16, 1
	s_delay_alu instid0(VALU_DEP_1)
	v_add3_u32 v5, v1, v5, 0x7fff
                                        ; implicit-def: $vgpr1
; %bb.92:                               ;   in Loop: Header=BB35_50 Depth=1
	s_and_not1_saveexec_b32 s0, s0
; %bb.93:                               ;   in Loop: Header=BB35_50 Depth=1
	v_and_b32_e32 v5, 0xffff, v1
	v_or_b32_e32 v10, 0x10000, v1
	s_delay_alu instid0(VALU_DEP_2) | instskip(NEXT) | instid1(VALU_DEP_2)
	v_cmp_eq_u32_e32 vcc_lo, 0, v5
	v_cndmask_b32_e32 v5, v10, v1, vcc_lo
; %bb.94:                               ;   in Loop: Header=BB35_50 Depth=1
	s_or_b32 exec_lo, exec_lo, s0
	s_delay_alu instid0(VALU_DEP_1) | instskip(SKIP_1) | instid1(VALU_DEP_1)
	v_and_b32_e32 v1, 0xffff0000, v5
	s_mov_b32 s0, exec_lo
	v_mul_f32_e32 v1, v23, v1
	s_delay_alu instid0(VALU_DEP_1) | instskip(NEXT) | instid1(VALU_DEP_1)
	v_minmax_f32 v18, v1, s4, 0xc3600000
	v_and_b32_e32 v10, 0x7f800000, v18
	v_lshrrev_b32_e32 v1, 24, v18
	s_delay_alu instid0(VALU_DEP_1) | instskip(NEXT) | instid1(VALU_DEP_3)
	v_or_b32_e32 v5, 0x7f, v1
	v_cmpx_ne_u64_e32 0x7f800000, v[10:11]
	s_xor_b32 s5, exec_lo, s0
	s_cbranch_execz .LBB35_104
; %bb.95:                               ;   in Loop: Header=BB35_50 Depth=1
	v_and_b32_e32 v10, 0x7fffffff, v18
	s_mov_b32 s0, exec_lo
	s_delay_alu instid0(VALU_DEP_1)
	v_cmpx_gt_u64_e32 0x43700001, v[10:11]
	s_xor_b32 s6, exec_lo, s0
	s_cbranch_execz .LBB35_103
; %bb.96:                               ;   in Loop: Header=BB35_50 Depth=1
	v_mov_b32_e32 v5, 0
	s_mov_b32 s7, exec_lo
	v_cmpx_ne_u32_e32 0, v18
	s_cbranch_execz .LBB35_102
; %bb.97:                               ;   in Loop: Header=BB35_50 Depth=1
	v_bfe_u32 v5, v18, 23, 8
	v_and_b32_e32 v18, 0x7fffff, v18
	s_delay_alu instid0(VALU_DEP_2) | instskip(SKIP_2) | instid1(VALU_DEP_3)
	v_sub_nc_u32_e64 v10, 0x78, v5 clamp
	v_cmp_eq_u32_e32 vcc_lo, 0, v5
	v_add_nc_u32_e32 v5, 0xffffff89, v5
	v_cndmask_b32_e64 v28, v10, 0x77, vcc_lo
	v_or_b32_e32 v10, 0x800000, v18
	s_delay_alu instid0(VALU_DEP_3) | instskip(NEXT) | instid1(VALU_DEP_2)
	v_cndmask_b32_e64 v5, v5, 0xffffff8a, vcc_lo
	v_dual_cndmask_b32 v10, v10, v18 :: v_dual_add_nc_u32 v19, 20, v28
	v_add_nc_u32_e32 v24, 19, v28
	s_delay_alu instid0(VALU_DEP_2) | instskip(NEXT) | instid1(VALU_DEP_3)
	v_lshlrev_b64 v[18:19], v19, -1
	v_lshrrev_b64 v[26:27], v28, v[10:11]
	s_delay_alu instid0(VALU_DEP_3) | instskip(SKIP_1) | instid1(VALU_DEP_4)
	v_lshlrev_b64 v[24:25], v24, 1
	v_mov_b32_e32 v19, v11
	v_not_b32_e32 v18, v18
	s_delay_alu instid0(VALU_DEP_1) | instskip(SKIP_1) | instid1(VALU_DEP_2)
	v_and_b32_e32 v18, v10, v18
	v_and_b32_e32 v10, 0x100000, v26
	v_cmp_eq_u64_e64 s0, v[18:19], v[24:25]
	s_delay_alu instid0(VALU_DEP_2) | instskip(SKIP_1) | instid1(VALU_DEP_1)
	v_cmp_eq_u64_e64 s1, 0, v[10:11]
	v_lshrrev_b32_e32 v10, 23, v26
	v_add3_u32 v24, v5, v28, v10
	s_delay_alu instid0(VALU_DEP_3) | instskip(SKIP_2) | instid1(VALU_DEP_2)
	s_and_b32 vcc_lo, s1, s0
	s_mov_b32 s0, exec_lo
	v_subrev_co_ci_u32_e32 v18, vcc_lo, 0, v26, vcc_lo
	v_add_nc_u32_e32 v25, -1, v24
	s_delay_alu instid0(VALU_DEP_2) | instskip(NEXT) | instid1(VALU_DEP_1)
	v_and_b32_e32 v5, 0xfffff, v18
	v_add_co_u32 v18, vcc_lo, v5, v26
	v_add_co_ci_u32_e32 v19, vcc_lo, 0, v27, vcc_lo
                                        ; implicit-def: $vgpr5
	s_delay_alu instid0(VALU_DEP_4)
	v_cmpx_ne_u32_e32 0, v25
	s_xor_b32 s0, exec_lo, s0
; %bb.98:                               ;   in Loop: Header=BB35_50 Depth=1
	s_delay_alu instid0(VALU_DEP_3) | instskip(SKIP_1) | instid1(VALU_DEP_2)
	v_and_b32_e32 v10, 0x1000000, v18
	v_bfe_u32 v5, v18, 24, 1
	v_cmp_eq_u64_e32 vcc_lo, 0, v[10:11]
	s_delay_alu instid0(VALU_DEP_2)
	v_lshrrev_b64 v[18:19], v5, v[18:19]
	v_cndmask_b32_e32 v5, v24, v25, vcc_lo
; %bb.99:                               ;   in Loop: Header=BB35_50 Depth=1
	s_and_not1_saveexec_b32 s0, s0
; %bb.100:                              ;   in Loop: Header=BB35_50 Depth=1
	s_delay_alu instid0(VALU_DEP_2)
	v_bfe_u32 v5, v18, 23, 1
; %bb.101:                              ;   in Loop: Header=BB35_50 Depth=1
	s_or_b32 exec_lo, exec_lo, s0
	s_delay_alu instid0(VALU_DEP_3) | instskip(NEXT) | instid1(VALU_DEP_2)
	v_lshrrev_b64 v[18:19], 20, v[18:19]
	v_cmp_gt_i32_e32 vcc_lo, 16, v5
	v_and_b32_e32 v1, 0x80, v1
	v_min_i32_e32 v10, 15, v5
	v_cmp_eq_u32_e64 s0, 0, v5
	v_dual_cndmask_b32 v18, 7, v18 :: v_dual_cndmask_b32 v19, 0, v19
	s_delay_alu instid0(VALU_DEP_3) | instskip(NEXT) | instid1(VALU_DEP_2)
	v_lshl_or_b32 v1, v10, 3, v1
	v_cmp_eq_u64_e32 vcc_lo, 0, v[18:19]
	s_delay_alu instid0(VALU_DEP_2)
	v_and_or_b32 v1, v18, 7, v1
	s_and_b32 s0, s0, vcc_lo
	s_delay_alu instid0(VALU_DEP_1) | instid1(SALU_CYCLE_1)
	v_cndmask_b32_e64 v5, v1, 0, s0
.LBB35_102:                             ;   in Loop: Header=BB35_50 Depth=1
	s_or_b32 exec_lo, exec_lo, s7
.LBB35_103:                             ;   in Loop: Header=BB35_50 Depth=1
	s_and_not1_saveexec_b32 s0, s6
	s_delay_alu instid0(SALU_CYCLE_1)
	s_or_b32 exec_lo, exec_lo, s0
.LBB35_104:                             ;   in Loop: Header=BB35_50 Depth=1
	s_and_not1_saveexec_b32 s0, s5
	s_delay_alu instid0(SALU_CYCLE_1) | instskip(SKIP_4) | instid1(VALU_DEP_1)
	s_or_b32 exec_lo, exec_lo, s0
	v_and_b32_e32 v1, 0xffff0000, v6
	s_mov_b32 s0, exec_lo
	global_store_b8 v[16:17], v5, off offset:2
                                        ; implicit-def: $vgpr5
	v_mul_f32_e32 v1, v22, v1
	v_and_b32_e32 v6, 0x7f800000, v1
	s_delay_alu instid0(VALU_DEP_1)
	v_cmpx_ne_u32_e32 0x7f800000, v6
	s_xor_b32 s0, exec_lo, s0
; %bb.105:                              ;   in Loop: Header=BB35_50 Depth=1
	v_bfe_u32 v5, v1, 16, 1
	s_delay_alu instid0(VALU_DEP_1)
	v_add3_u32 v5, v1, v5, 0x7fff
                                        ; implicit-def: $vgpr1
; %bb.106:                              ;   in Loop: Header=BB35_50 Depth=1
	s_and_not1_saveexec_b32 s0, s0
; %bb.107:                              ;   in Loop: Header=BB35_50 Depth=1
	v_and_b32_e32 v5, 0xffff, v1
	v_or_b32_e32 v6, 0x10000, v1
	s_delay_alu instid0(VALU_DEP_2) | instskip(NEXT) | instid1(VALU_DEP_2)
	v_cmp_eq_u32_e32 vcc_lo, 0, v5
	v_cndmask_b32_e32 v5, v6, v1, vcc_lo
; %bb.108:                              ;   in Loop: Header=BB35_50 Depth=1
	s_or_b32 exec_lo, exec_lo, s0
	s_delay_alu instid0(VALU_DEP_1) | instskip(SKIP_1) | instid1(VALU_DEP_1)
	v_and_b32_e32 v1, 0xffff0000, v5
	v_and_b32_e32 v2, 0xffff0000, v2
	v_mul_f32_e32 v1, v1, v2
	s_delay_alu instid0(VALU_DEP_1) | instskip(NEXT) | instid1(VALU_DEP_1)
	v_and_b32_e32 v2, 0x7f800000, v1
	v_cmp_ne_u32_e32 vcc_lo, 0x7f800000, v2
                                        ; implicit-def: $vgpr2
	s_and_saveexec_b32 s0, vcc_lo
	s_delay_alu instid0(SALU_CYCLE_1)
	s_xor_b32 s0, exec_lo, s0
; %bb.109:                              ;   in Loop: Header=BB35_50 Depth=1
	v_bfe_u32 v2, v1, 16, 1
	s_delay_alu instid0(VALU_DEP_1)
	v_add3_u32 v2, v1, v2, 0x7fff
                                        ; implicit-def: $vgpr1
; %bb.110:                              ;   in Loop: Header=BB35_50 Depth=1
	s_and_not1_saveexec_b32 s0, s0
; %bb.111:                              ;   in Loop: Header=BB35_50 Depth=1
	v_and_b32_e32 v2, 0xffff, v1
	v_or_b32_e32 v5, 0x10000, v1
	s_delay_alu instid0(VALU_DEP_2) | instskip(NEXT) | instid1(VALU_DEP_2)
	v_cmp_eq_u32_e32 vcc_lo, 0, v2
	v_cndmask_b32_e32 v2, v5, v1, vcc_lo
; %bb.112:                              ;   in Loop: Header=BB35_50 Depth=1
	s_or_b32 exec_lo, exec_lo, s0
	s_delay_alu instid0(VALU_DEP_1) | instskip(SKIP_1) | instid1(VALU_DEP_1)
	v_and_b32_e32 v1, 0xffff0000, v2
	s_mov_b32 s0, exec_lo
	v_mul_f32_e32 v1, v23, v1
	s_delay_alu instid0(VALU_DEP_1) | instskip(NEXT) | instid1(VALU_DEP_1)
	v_minmax_f32 v2, v1, s4, 0xc3600000
	v_and_b32_e32 v10, 0x7f800000, v2
	v_lshrrev_b32_e32 v5, 24, v2
	s_delay_alu instid0(VALU_DEP_1) | instskip(NEXT) | instid1(VALU_DEP_3)
	v_or_b32_e32 v1, 0x7f, v5
	v_cmpx_ne_u64_e32 0x7f800000, v[10:11]
	s_xor_b32 s5, exec_lo, s0
	s_cbranch_execz .LBB35_122
; %bb.113:                              ;   in Loop: Header=BB35_50 Depth=1
	v_and_b32_e32 v10, 0x7fffffff, v2
	s_mov_b32 s0, exec_lo
	s_delay_alu instid0(VALU_DEP_1)
	v_cmpx_gt_u64_e32 0x43700001, v[10:11]
	s_xor_b32 s6, exec_lo, s0
	s_cbranch_execz .LBB35_121
; %bb.114:                              ;   in Loop: Header=BB35_50 Depth=1
	v_mov_b32_e32 v1, 0
	s_mov_b32 s7, exec_lo
	v_cmpx_ne_u32_e32 0, v2
	s_cbranch_execz .LBB35_120
; %bb.115:                              ;   in Loop: Header=BB35_50 Depth=1
	v_bfe_u32 v6, v2, 23, 8
	v_and_b32_e32 v2, 0x7fffff, v2
	s_delay_alu instid0(VALU_DEP_2) | instskip(SKIP_2) | instid1(VALU_DEP_3)
	v_sub_nc_u32_e64 v1, 0x78, v6 clamp
	v_cmp_eq_u32_e32 vcc_lo, 0, v6
	v_add_nc_u32_e32 v6, 0xffffff89, v6
	v_cndmask_b32_e64 v26, v1, 0x77, vcc_lo
	v_or_b32_e32 v1, 0x800000, v2
	s_delay_alu instid0(VALU_DEP_2) | instskip(NEXT) | instid1(VALU_DEP_2)
	v_add_nc_u32_e32 v18, 20, v26
	v_cndmask_b32_e32 v10, v1, v2, vcc_lo
	s_delay_alu instid0(VALU_DEP_2) | instskip(SKIP_1) | instid1(VALU_DEP_3)
	v_lshlrev_b64 v[1:2], v18, -1
	v_add_nc_u32_e32 v18, 19, v26
	v_lshrrev_b64 v[24:25], v26, v[10:11]
	s_delay_alu instid0(VALU_DEP_2) | instskip(NEXT) | instid1(VALU_DEP_4)
	v_lshlrev_b64 v[18:19], v18, 1
	v_not_b32_e32 v1, v1
	s_delay_alu instid0(VALU_DEP_1) | instskip(NEXT) | instid1(VALU_DEP_4)
	v_dual_mov_b32 v2, v11 :: v_dual_and_b32 v1, v10, v1
	v_and_b32_e32 v10, 0x100000, v24
	s_delay_alu instid0(VALU_DEP_2) | instskip(NEXT) | instid1(VALU_DEP_2)
	v_cmp_eq_u64_e64 s0, v[1:2], v[18:19]
	v_cmp_eq_u64_e64 s1, 0, v[10:11]
	v_cndmask_b32_e64 v1, v6, 0xffffff8a, vcc_lo
	v_lshrrev_b32_e32 v2, 23, v24
	s_delay_alu instid0(VALU_DEP_3) | instskip(NEXT) | instid1(VALU_DEP_1)
	s_and_b32 vcc_lo, s1, s0
	v_add3_u32 v18, v1, v26, v2
	v_subrev_co_ci_u32_e32 v6, vcc_lo, 0, v24, vcc_lo
	s_mov_b32 s0, exec_lo
	s_delay_alu instid0(VALU_DEP_2) | instskip(NEXT) | instid1(VALU_DEP_2)
	v_add_nc_u32_e32 v19, -1, v18
	v_and_b32_e32 v1, 0xfffff, v6
                                        ; implicit-def: $vgpr6
	s_delay_alu instid0(VALU_DEP_1) | instskip(SKIP_1) | instid1(VALU_DEP_4)
	v_add_co_u32 v1, vcc_lo, v1, v24
	v_add_co_ci_u32_e32 v2, vcc_lo, 0, v25, vcc_lo
	v_cmpx_ne_u32_e32 0, v19
	s_xor_b32 s0, exec_lo, s0
; %bb.116:                              ;   in Loop: Header=BB35_50 Depth=1
	s_delay_alu instid0(VALU_DEP_3) | instskip(SKIP_1) | instid1(VALU_DEP_2)
	v_and_b32_e32 v10, 0x1000000, v1
	v_bfe_u32 v6, v1, 24, 1
	v_cmp_eq_u64_e32 vcc_lo, 0, v[10:11]
	s_delay_alu instid0(VALU_DEP_2)
	v_lshrrev_b64 v[1:2], v6, v[1:2]
	v_cndmask_b32_e32 v6, v18, v19, vcc_lo
; %bb.117:                              ;   in Loop: Header=BB35_50 Depth=1
	s_and_not1_saveexec_b32 s0, s0
; %bb.118:                              ;   in Loop: Header=BB35_50 Depth=1
	s_delay_alu instid0(VALU_DEP_2)
	v_bfe_u32 v6, v1, 23, 1
; %bb.119:                              ;   in Loop: Header=BB35_50 Depth=1
	s_or_b32 exec_lo, exec_lo, s0
	s_delay_alu instid0(VALU_DEP_3) | instskip(NEXT) | instid1(VALU_DEP_2)
	v_lshrrev_b64 v[1:2], 20, v[1:2]
	v_cmp_gt_i32_e32 vcc_lo, 16, v6
	v_and_b32_e32 v5, 0x80, v5
	v_min_i32_e32 v10, 15, v6
	v_cmp_eq_u32_e64 s0, 0, v6
	v_dual_cndmask_b32 v2, 0, v2 :: v_dual_cndmask_b32 v1, 7, v1
	s_delay_alu instid0(VALU_DEP_3) | instskip(NEXT) | instid1(VALU_DEP_2)
	v_lshl_or_b32 v5, v10, 3, v5
	v_cmp_eq_u64_e32 vcc_lo, 0, v[1:2]
	s_delay_alu instid0(VALU_DEP_2)
	v_and_or_b32 v1, v1, 7, v5
	s_and_b32 s0, s0, vcc_lo
	s_delay_alu instid0(VALU_DEP_1) | instid1(SALU_CYCLE_1)
	v_cndmask_b32_e64 v1, v1, 0, s0
.LBB35_120:                             ;   in Loop: Header=BB35_50 Depth=1
	s_or_b32 exec_lo, exec_lo, s7
.LBB35_121:                             ;   in Loop: Header=BB35_50 Depth=1
	s_and_not1_saveexec_b32 s0, s6
	s_delay_alu instid0(SALU_CYCLE_1)
	s_or_b32 exec_lo, exec_lo, s0
.LBB35_122:                             ;   in Loop: Header=BB35_50 Depth=1
	s_and_not1_saveexec_b32 s0, s5
	s_delay_alu instid0(SALU_CYCLE_1) | instskip(SKIP_4) | instid1(VALU_DEP_1)
	s_or_b32 exec_lo, exec_lo, s0
	v_lshlrev_b32_e32 v2, 16, v7
	s_mov_b32 s0, exec_lo
	global_store_b8 v[16:17], v1, off offset:3
                                        ; implicit-def: $vgpr1
	v_mul_f32_e32 v2, v22, v2
	v_and_b32_e32 v5, 0x7f800000, v2
	s_delay_alu instid0(VALU_DEP_1)
	v_cmpx_ne_u32_e32 0x7f800000, v5
	s_xor_b32 s0, exec_lo, s0
; %bb.123:                              ;   in Loop: Header=BB35_50 Depth=1
	v_bfe_u32 v1, v2, 16, 1
	s_delay_alu instid0(VALU_DEP_1)
	v_add3_u32 v1, v2, v1, 0x7fff
                                        ; implicit-def: $vgpr2
; %bb.124:                              ;   in Loop: Header=BB35_50 Depth=1
	s_and_not1_saveexec_b32 s0, s0
; %bb.125:                              ;   in Loop: Header=BB35_50 Depth=1
	v_and_b32_e32 v1, 0xffff, v2
	v_or_b32_e32 v5, 0x10000, v2
	s_delay_alu instid0(VALU_DEP_2) | instskip(NEXT) | instid1(VALU_DEP_2)
	v_cmp_eq_u32_e32 vcc_lo, 0, v1
	v_cndmask_b32_e32 v1, v5, v2, vcc_lo
; %bb.126:                              ;   in Loop: Header=BB35_50 Depth=1
	s_or_b32 exec_lo, exec_lo, s0
	s_delay_alu instid0(VALU_DEP_1) | instskip(SKIP_1) | instid1(VALU_DEP_1)
	v_and_b32_e32 v1, 0xffff0000, v1
	v_lshlrev_b32_e32 v2, 16, v3
	v_mul_f32_e32 v1, v1, v2
	s_delay_alu instid0(VALU_DEP_1) | instskip(NEXT) | instid1(VALU_DEP_1)
	v_and_b32_e32 v2, 0x7f800000, v1
	v_cmp_ne_u32_e32 vcc_lo, 0x7f800000, v2
                                        ; implicit-def: $vgpr2
	s_and_saveexec_b32 s0, vcc_lo
	s_delay_alu instid0(SALU_CYCLE_1)
	s_xor_b32 s0, exec_lo, s0
; %bb.127:                              ;   in Loop: Header=BB35_50 Depth=1
	v_bfe_u32 v2, v1, 16, 1
	s_delay_alu instid0(VALU_DEP_1)
	v_add3_u32 v2, v1, v2, 0x7fff
                                        ; implicit-def: $vgpr1
; %bb.128:                              ;   in Loop: Header=BB35_50 Depth=1
	s_and_not1_saveexec_b32 s0, s0
; %bb.129:                              ;   in Loop: Header=BB35_50 Depth=1
	v_and_b32_e32 v2, 0xffff, v1
	v_or_b32_e32 v5, 0x10000, v1
	s_delay_alu instid0(VALU_DEP_2) | instskip(NEXT) | instid1(VALU_DEP_2)
	v_cmp_eq_u32_e32 vcc_lo, 0, v2
	v_cndmask_b32_e32 v2, v5, v1, vcc_lo
; %bb.130:                              ;   in Loop: Header=BB35_50 Depth=1
	s_or_b32 exec_lo, exec_lo, s0
	s_delay_alu instid0(VALU_DEP_1) | instskip(SKIP_1) | instid1(VALU_DEP_1)
	v_and_b32_e32 v1, 0xffff0000, v2
	s_mov_b32 s0, exec_lo
	v_mul_f32_e32 v1, v23, v1
	s_delay_alu instid0(VALU_DEP_1) | instskip(NEXT) | instid1(VALU_DEP_1)
	v_minmax_f32 v2, v1, s4, 0xc3600000
	v_and_b32_e32 v10, 0x7f800000, v2
	v_lshrrev_b32_e32 v5, 24, v2
	s_delay_alu instid0(VALU_DEP_1) | instskip(NEXT) | instid1(VALU_DEP_3)
	v_or_b32_e32 v1, 0x7f, v5
	v_cmpx_ne_u64_e32 0x7f800000, v[10:11]
	s_xor_b32 s5, exec_lo, s0
	s_cbranch_execz .LBB35_140
; %bb.131:                              ;   in Loop: Header=BB35_50 Depth=1
	v_and_b32_e32 v10, 0x7fffffff, v2
	s_mov_b32 s0, exec_lo
	s_delay_alu instid0(VALU_DEP_1)
	v_cmpx_gt_u64_e32 0x43700001, v[10:11]
	s_xor_b32 s6, exec_lo, s0
	s_cbranch_execz .LBB35_139
; %bb.132:                              ;   in Loop: Header=BB35_50 Depth=1
	v_mov_b32_e32 v1, 0
	s_mov_b32 s7, exec_lo
	v_cmpx_ne_u32_e32 0, v2
	s_cbranch_execz .LBB35_138
; %bb.133:                              ;   in Loop: Header=BB35_50 Depth=1
	v_bfe_u32 v6, v2, 23, 8
	v_and_b32_e32 v2, 0x7fffff, v2
	s_delay_alu instid0(VALU_DEP_2) | instskip(SKIP_2) | instid1(VALU_DEP_3)
	v_sub_nc_u32_e64 v1, 0x78, v6 clamp
	v_cmp_eq_u32_e32 vcc_lo, 0, v6
	v_add_nc_u32_e32 v6, 0xffffff89, v6
	v_cndmask_b32_e64 v26, v1, 0x77, vcc_lo
	v_or_b32_e32 v1, 0x800000, v2
	s_delay_alu instid0(VALU_DEP_2) | instskip(NEXT) | instid1(VALU_DEP_2)
	v_add_nc_u32_e32 v18, 20, v26
	v_cndmask_b32_e32 v10, v1, v2, vcc_lo
	s_delay_alu instid0(VALU_DEP_2) | instskip(SKIP_1) | instid1(VALU_DEP_3)
	v_lshlrev_b64 v[1:2], v18, -1
	v_add_nc_u32_e32 v18, 19, v26
	v_lshrrev_b64 v[24:25], v26, v[10:11]
	s_delay_alu instid0(VALU_DEP_2) | instskip(NEXT) | instid1(VALU_DEP_4)
	v_lshlrev_b64 v[18:19], v18, 1
	v_not_b32_e32 v1, v1
	s_delay_alu instid0(VALU_DEP_1) | instskip(NEXT) | instid1(VALU_DEP_4)
	v_dual_mov_b32 v2, v11 :: v_dual_and_b32 v1, v10, v1
	v_and_b32_e32 v10, 0x100000, v24
	s_delay_alu instid0(VALU_DEP_2) | instskip(NEXT) | instid1(VALU_DEP_2)
	v_cmp_eq_u64_e64 s0, v[1:2], v[18:19]
	v_cmp_eq_u64_e64 s1, 0, v[10:11]
	v_cndmask_b32_e64 v1, v6, 0xffffff8a, vcc_lo
	v_lshrrev_b32_e32 v2, 23, v24
	s_delay_alu instid0(VALU_DEP_3) | instskip(NEXT) | instid1(VALU_DEP_1)
	s_and_b32 vcc_lo, s1, s0
	v_add3_u32 v18, v1, v26, v2
	v_subrev_co_ci_u32_e32 v6, vcc_lo, 0, v24, vcc_lo
	s_mov_b32 s0, exec_lo
	s_delay_alu instid0(VALU_DEP_2) | instskip(NEXT) | instid1(VALU_DEP_2)
	v_add_nc_u32_e32 v19, -1, v18
	v_and_b32_e32 v1, 0xfffff, v6
                                        ; implicit-def: $vgpr6
	s_delay_alu instid0(VALU_DEP_1) | instskip(SKIP_1) | instid1(VALU_DEP_4)
	v_add_co_u32 v1, vcc_lo, v1, v24
	v_add_co_ci_u32_e32 v2, vcc_lo, 0, v25, vcc_lo
	v_cmpx_ne_u32_e32 0, v19
	s_xor_b32 s0, exec_lo, s0
; %bb.134:                              ;   in Loop: Header=BB35_50 Depth=1
	s_delay_alu instid0(VALU_DEP_3) | instskip(SKIP_1) | instid1(VALU_DEP_2)
	v_and_b32_e32 v10, 0x1000000, v1
	v_bfe_u32 v6, v1, 24, 1
	v_cmp_eq_u64_e32 vcc_lo, 0, v[10:11]
	s_delay_alu instid0(VALU_DEP_2)
	v_lshrrev_b64 v[1:2], v6, v[1:2]
	v_cndmask_b32_e32 v6, v18, v19, vcc_lo
; %bb.135:                              ;   in Loop: Header=BB35_50 Depth=1
	s_and_not1_saveexec_b32 s0, s0
; %bb.136:                              ;   in Loop: Header=BB35_50 Depth=1
	s_delay_alu instid0(VALU_DEP_2)
	v_bfe_u32 v6, v1, 23, 1
; %bb.137:                              ;   in Loop: Header=BB35_50 Depth=1
	s_or_b32 exec_lo, exec_lo, s0
	s_delay_alu instid0(VALU_DEP_3) | instskip(NEXT) | instid1(VALU_DEP_2)
	v_lshrrev_b64 v[1:2], 20, v[1:2]
	v_cmp_gt_i32_e32 vcc_lo, 16, v6
	v_and_b32_e32 v5, 0x80, v5
	v_min_i32_e32 v10, 15, v6
	v_cmp_eq_u32_e64 s0, 0, v6
	v_dual_cndmask_b32 v2, 0, v2 :: v_dual_cndmask_b32 v1, 7, v1
	s_delay_alu instid0(VALU_DEP_3) | instskip(NEXT) | instid1(VALU_DEP_2)
	v_lshl_or_b32 v5, v10, 3, v5
	v_cmp_eq_u64_e32 vcc_lo, 0, v[1:2]
	s_delay_alu instid0(VALU_DEP_2)
	v_and_or_b32 v1, v1, 7, v5
	s_and_b32 s0, s0, vcc_lo
	s_delay_alu instid0(VALU_DEP_1) | instid1(SALU_CYCLE_1)
	v_cndmask_b32_e64 v1, v1, 0, s0
.LBB35_138:                             ;   in Loop: Header=BB35_50 Depth=1
	s_or_b32 exec_lo, exec_lo, s7
.LBB35_139:                             ;   in Loop: Header=BB35_50 Depth=1
	s_and_not1_saveexec_b32 s0, s6
	s_delay_alu instid0(SALU_CYCLE_1)
	s_or_b32 exec_lo, exec_lo, s0
.LBB35_140:                             ;   in Loop: Header=BB35_50 Depth=1
	s_and_not1_saveexec_b32 s0, s5
	s_delay_alu instid0(SALU_CYCLE_1) | instskip(SKIP_4) | instid1(VALU_DEP_1)
	s_or_b32 exec_lo, exec_lo, s0
	v_and_b32_e32 v2, 0xffff0000, v7
	s_mov_b32 s0, exec_lo
	global_store_b8 v[16:17], v1, off offset:4
                                        ; implicit-def: $vgpr1
	v_mul_f32_e32 v2, v22, v2
	v_and_b32_e32 v5, 0x7f800000, v2
	s_delay_alu instid0(VALU_DEP_1)
	v_cmpx_ne_u32_e32 0x7f800000, v5
	s_xor_b32 s0, exec_lo, s0
; %bb.141:                              ;   in Loop: Header=BB35_50 Depth=1
	v_bfe_u32 v1, v2, 16, 1
	s_delay_alu instid0(VALU_DEP_1)
	v_add3_u32 v1, v2, v1, 0x7fff
                                        ; implicit-def: $vgpr2
; %bb.142:                              ;   in Loop: Header=BB35_50 Depth=1
	s_and_not1_saveexec_b32 s0, s0
; %bb.143:                              ;   in Loop: Header=BB35_50 Depth=1
	v_and_b32_e32 v1, 0xffff, v2
	v_or_b32_e32 v5, 0x10000, v2
	s_delay_alu instid0(VALU_DEP_2) | instskip(NEXT) | instid1(VALU_DEP_2)
	v_cmp_eq_u32_e32 vcc_lo, 0, v1
	v_cndmask_b32_e32 v1, v5, v2, vcc_lo
; %bb.144:                              ;   in Loop: Header=BB35_50 Depth=1
	s_or_b32 exec_lo, exec_lo, s0
	s_delay_alu instid0(VALU_DEP_1) | instskip(SKIP_1) | instid1(VALU_DEP_1)
	v_and_b32_e32 v1, 0xffff0000, v1
	v_and_b32_e32 v2, 0xffff0000, v3
	v_mul_f32_e32 v1, v1, v2
	s_delay_alu instid0(VALU_DEP_1) | instskip(NEXT) | instid1(VALU_DEP_1)
	v_and_b32_e32 v2, 0x7f800000, v1
	v_cmp_ne_u32_e32 vcc_lo, 0x7f800000, v2
                                        ; implicit-def: $vgpr2
	s_and_saveexec_b32 s0, vcc_lo
	s_delay_alu instid0(SALU_CYCLE_1)
	s_xor_b32 s0, exec_lo, s0
; %bb.145:                              ;   in Loop: Header=BB35_50 Depth=1
	v_bfe_u32 v2, v1, 16, 1
	s_delay_alu instid0(VALU_DEP_1)
	v_add3_u32 v2, v1, v2, 0x7fff
                                        ; implicit-def: $vgpr1
; %bb.146:                              ;   in Loop: Header=BB35_50 Depth=1
	s_and_not1_saveexec_b32 s0, s0
; %bb.147:                              ;   in Loop: Header=BB35_50 Depth=1
	v_and_b32_e32 v2, 0xffff, v1
	v_or_b32_e32 v3, 0x10000, v1
	s_delay_alu instid0(VALU_DEP_2) | instskip(NEXT) | instid1(VALU_DEP_2)
	v_cmp_eq_u32_e32 vcc_lo, 0, v2
	v_cndmask_b32_e32 v2, v3, v1, vcc_lo
; %bb.148:                              ;   in Loop: Header=BB35_50 Depth=1
	s_or_b32 exec_lo, exec_lo, s0
	s_delay_alu instid0(VALU_DEP_1) | instskip(SKIP_1) | instid1(VALU_DEP_1)
	v_and_b32_e32 v1, 0xffff0000, v2
	s_mov_b32 s0, exec_lo
	v_mul_f32_e32 v1, v23, v1
	s_delay_alu instid0(VALU_DEP_1) | instskip(NEXT) | instid1(VALU_DEP_1)
	v_minmax_f32 v2, v1, s4, 0xc3600000
	v_and_b32_e32 v10, 0x7f800000, v2
	v_lshrrev_b32_e32 v3, 24, v2
	s_delay_alu instid0(VALU_DEP_1) | instskip(NEXT) | instid1(VALU_DEP_3)
	v_or_b32_e32 v1, 0x7f, v3
	v_cmpx_ne_u64_e32 0x7f800000, v[10:11]
	s_xor_b32 s5, exec_lo, s0
	s_cbranch_execz .LBB35_158
; %bb.149:                              ;   in Loop: Header=BB35_50 Depth=1
	v_and_b32_e32 v10, 0x7fffffff, v2
	s_mov_b32 s0, exec_lo
	s_delay_alu instid0(VALU_DEP_1)
	v_cmpx_gt_u64_e32 0x43700001, v[10:11]
	s_xor_b32 s6, exec_lo, s0
	s_cbranch_execz .LBB35_157
; %bb.150:                              ;   in Loop: Header=BB35_50 Depth=1
	v_mov_b32_e32 v1, 0
	s_mov_b32 s7, exec_lo
	v_cmpx_ne_u32_e32 0, v2
	s_cbranch_execz .LBB35_156
; %bb.151:                              ;   in Loop: Header=BB35_50 Depth=1
	v_bfe_u32 v7, v2, 23, 8
	v_and_b32_e32 v2, 0x7fffff, v2
	s_delay_alu instid0(VALU_DEP_2) | instskip(SKIP_2) | instid1(VALU_DEP_3)
	v_sub_nc_u32_e64 v1, 0x78, v7 clamp
	v_cmp_eq_u32_e32 vcc_lo, 0, v7
	v_add_nc_u32_e32 v7, 0xffffff89, v7
	v_cndmask_b32_e64 v24, v1, 0x77, vcc_lo
	v_or_b32_e32 v1, 0x800000, v2
	s_delay_alu instid0(VALU_DEP_1) | instskip(NEXT) | instid1(VALU_DEP_1)
	v_dual_cndmask_b32 v10, v1, v2 :: v_dual_add_nc_u32 v5, 20, v24
	v_lshlrev_b64 v[1:2], v5, -1
	v_dual_mov_b32 v2, v11 :: v_dual_add_nc_u32 v5, 19, v24
	s_delay_alu instid0(VALU_DEP_3) | instskip(NEXT) | instid1(VALU_DEP_2)
	v_lshrrev_b64 v[18:19], v24, v[10:11]
	v_lshlrev_b64 v[5:6], v5, 1
	s_delay_alu instid0(VALU_DEP_4) | instskip(NEXT) | instid1(VALU_DEP_1)
	v_not_b32_e32 v1, v1
	v_and_b32_e32 v1, v10, v1
	s_delay_alu instid0(VALU_DEP_4) | instskip(NEXT) | instid1(VALU_DEP_2)
	v_and_b32_e32 v10, 0x100000, v18
	v_cmp_eq_u64_e64 s0, v[1:2], v[5:6]
	s_delay_alu instid0(VALU_DEP_2) | instskip(SKIP_2) | instid1(VALU_DEP_3)
	v_cmp_eq_u64_e64 s1, 0, v[10:11]
	v_cndmask_b32_e64 v1, v7, 0xffffff8a, vcc_lo
	v_lshrrev_b32_e32 v2, 23, v18
	s_and_b32 vcc_lo, s1, s0
	s_delay_alu instid0(VALU_DEP_1) | instskip(SKIP_2) | instid1(VALU_DEP_2)
	v_add3_u32 v6, v1, v24, v2
	v_subrev_co_ci_u32_e32 v5, vcc_lo, 0, v18, vcc_lo
	s_mov_b32 s0, exec_lo
	v_add_nc_u32_e32 v7, -1, v6
	s_delay_alu instid0(VALU_DEP_2) | instskip(NEXT) | instid1(VALU_DEP_1)
	v_and_b32_e32 v1, 0xfffff, v5
                                        ; implicit-def: $vgpr5
	v_add_co_u32 v1, vcc_lo, v1, v18
	v_add_co_ci_u32_e32 v2, vcc_lo, 0, v19, vcc_lo
	s_delay_alu instid0(VALU_DEP_4)
	v_cmpx_ne_u32_e32 0, v7
	s_xor_b32 s0, exec_lo, s0
; %bb.152:                              ;   in Loop: Header=BB35_50 Depth=1
	s_delay_alu instid0(VALU_DEP_3) | instskip(SKIP_1) | instid1(VALU_DEP_2)
	v_and_b32_e32 v10, 0x1000000, v1
	v_bfe_u32 v5, v1, 24, 1
	v_cmp_eq_u64_e32 vcc_lo, 0, v[10:11]
	s_delay_alu instid0(VALU_DEP_2)
	v_lshrrev_b64 v[1:2], v5, v[1:2]
	v_cndmask_b32_e32 v5, v6, v7, vcc_lo
; %bb.153:                              ;   in Loop: Header=BB35_50 Depth=1
	s_and_not1_saveexec_b32 s0, s0
; %bb.154:                              ;   in Loop: Header=BB35_50 Depth=1
	s_delay_alu instid0(VALU_DEP_2)
	v_bfe_u32 v5, v1, 23, 1
; %bb.155:                              ;   in Loop: Header=BB35_50 Depth=1
	s_or_b32 exec_lo, exec_lo, s0
	s_delay_alu instid0(VALU_DEP_3) | instskip(NEXT) | instid1(VALU_DEP_2)
	v_lshrrev_b64 v[1:2], 20, v[1:2]
	v_cmp_gt_i32_e32 vcc_lo, 16, v5
	v_and_b32_e32 v3, 0x80, v3
	v_min_i32_e32 v6, 15, v5
	v_cmp_eq_u32_e64 s0, 0, v5
	v_dual_cndmask_b32 v2, 0, v2 :: v_dual_cndmask_b32 v1, 7, v1
	s_delay_alu instid0(VALU_DEP_3) | instskip(NEXT) | instid1(VALU_DEP_2)
	v_lshl_or_b32 v3, v6, 3, v3
	v_cmp_eq_u64_e32 vcc_lo, 0, v[1:2]
	s_delay_alu instid0(VALU_DEP_2)
	v_and_or_b32 v1, v1, 7, v3
	s_and_b32 s0, s0, vcc_lo
	s_delay_alu instid0(VALU_DEP_1) | instid1(SALU_CYCLE_1)
	v_cndmask_b32_e64 v1, v1, 0, s0
.LBB35_156:                             ;   in Loop: Header=BB35_50 Depth=1
	s_or_b32 exec_lo, exec_lo, s7
.LBB35_157:                             ;   in Loop: Header=BB35_50 Depth=1
	s_and_not1_saveexec_b32 s0, s6
	s_delay_alu instid0(SALU_CYCLE_1)
	s_or_b32 exec_lo, exec_lo, s0
.LBB35_158:                             ;   in Loop: Header=BB35_50 Depth=1
	s_and_not1_saveexec_b32 s0, s5
	s_delay_alu instid0(SALU_CYCLE_1) | instskip(SKIP_4) | instid1(VALU_DEP_1)
	s_or_b32 exec_lo, exec_lo, s0
	v_lshlrev_b32_e32 v2, 16, v8
	s_mov_b32 s0, exec_lo
	global_store_b8 v[16:17], v1, off offset:5
                                        ; implicit-def: $vgpr1
	v_mul_f32_e32 v2, v22, v2
	v_and_b32_e32 v3, 0x7f800000, v2
	s_delay_alu instid0(VALU_DEP_1)
	v_cmpx_ne_u32_e32 0x7f800000, v3
	s_xor_b32 s0, exec_lo, s0
; %bb.159:                              ;   in Loop: Header=BB35_50 Depth=1
	v_bfe_u32 v1, v2, 16, 1
	s_delay_alu instid0(VALU_DEP_1)
	v_add3_u32 v1, v2, v1, 0x7fff
                                        ; implicit-def: $vgpr2
; %bb.160:                              ;   in Loop: Header=BB35_50 Depth=1
	s_and_not1_saveexec_b32 s0, s0
; %bb.161:                              ;   in Loop: Header=BB35_50 Depth=1
	v_and_b32_e32 v1, 0xffff, v2
	v_or_b32_e32 v3, 0x10000, v2
	s_delay_alu instid0(VALU_DEP_2) | instskip(NEXT) | instid1(VALU_DEP_2)
	v_cmp_eq_u32_e32 vcc_lo, 0, v1
	v_cndmask_b32_e32 v1, v3, v2, vcc_lo
; %bb.162:                              ;   in Loop: Header=BB35_50 Depth=1
	s_or_b32 exec_lo, exec_lo, s0
	s_delay_alu instid0(VALU_DEP_1) | instskip(SKIP_1) | instid1(VALU_DEP_1)
	v_and_b32_e32 v1, 0xffff0000, v1
	v_lshlrev_b32_e32 v2, 16, v4
	v_mul_f32_e32 v1, v1, v2
	s_delay_alu instid0(VALU_DEP_1) | instskip(NEXT) | instid1(VALU_DEP_1)
	v_and_b32_e32 v2, 0x7f800000, v1
	v_cmp_ne_u32_e32 vcc_lo, 0x7f800000, v2
                                        ; implicit-def: $vgpr2
	s_and_saveexec_b32 s0, vcc_lo
	s_delay_alu instid0(SALU_CYCLE_1)
	s_xor_b32 s0, exec_lo, s0
; %bb.163:                              ;   in Loop: Header=BB35_50 Depth=1
	v_bfe_u32 v2, v1, 16, 1
	s_delay_alu instid0(VALU_DEP_1)
	v_add3_u32 v2, v1, v2, 0x7fff
                                        ; implicit-def: $vgpr1
; %bb.164:                              ;   in Loop: Header=BB35_50 Depth=1
	s_and_not1_saveexec_b32 s0, s0
; %bb.165:                              ;   in Loop: Header=BB35_50 Depth=1
	v_and_b32_e32 v2, 0xffff, v1
	v_or_b32_e32 v3, 0x10000, v1
	s_delay_alu instid0(VALU_DEP_2) | instskip(NEXT) | instid1(VALU_DEP_2)
	v_cmp_eq_u32_e32 vcc_lo, 0, v2
	v_cndmask_b32_e32 v2, v3, v1, vcc_lo
; %bb.166:                              ;   in Loop: Header=BB35_50 Depth=1
	s_or_b32 exec_lo, exec_lo, s0
	s_delay_alu instid0(VALU_DEP_1) | instskip(SKIP_1) | instid1(VALU_DEP_1)
	v_and_b32_e32 v1, 0xffff0000, v2
	s_mov_b32 s0, exec_lo
	v_mul_f32_e32 v1, v23, v1
	s_delay_alu instid0(VALU_DEP_1) | instskip(NEXT) | instid1(VALU_DEP_1)
	v_minmax_f32 v2, v1, s4, 0xc3600000
	v_and_b32_e32 v10, 0x7f800000, v2
	v_lshrrev_b32_e32 v3, 24, v2
	s_delay_alu instid0(VALU_DEP_1) | instskip(NEXT) | instid1(VALU_DEP_3)
	v_or_b32_e32 v1, 0x7f, v3
	v_cmpx_ne_u64_e32 0x7f800000, v[10:11]
	s_xor_b32 s5, exec_lo, s0
	s_cbranch_execz .LBB35_176
; %bb.167:                              ;   in Loop: Header=BB35_50 Depth=1
	v_and_b32_e32 v10, 0x7fffffff, v2
	s_mov_b32 s0, exec_lo
	s_delay_alu instid0(VALU_DEP_1)
	v_cmpx_gt_u64_e32 0x43700001, v[10:11]
	s_xor_b32 s6, exec_lo, s0
	s_cbranch_execz .LBB35_175
; %bb.168:                              ;   in Loop: Header=BB35_50 Depth=1
	v_mov_b32_e32 v1, 0
	s_mov_b32 s7, exec_lo
	v_cmpx_ne_u32_e32 0, v2
	s_cbranch_execz .LBB35_174
; %bb.169:                              ;   in Loop: Header=BB35_50 Depth=1
	v_bfe_u32 v7, v2, 23, 8
	v_and_b32_e32 v2, 0x7fffff, v2
	s_delay_alu instid0(VALU_DEP_2) | instskip(SKIP_2) | instid1(VALU_DEP_3)
	v_sub_nc_u32_e64 v1, 0x78, v7 clamp
	v_cmp_eq_u32_e32 vcc_lo, 0, v7
	v_add_nc_u32_e32 v7, 0xffffff89, v7
	v_cndmask_b32_e64 v24, v1, 0x77, vcc_lo
	v_or_b32_e32 v1, 0x800000, v2
	s_delay_alu instid0(VALU_DEP_1) | instskip(NEXT) | instid1(VALU_DEP_1)
	v_dual_cndmask_b32 v10, v1, v2 :: v_dual_add_nc_u32 v5, 20, v24
	v_lshlrev_b64 v[1:2], v5, -1
	v_dual_mov_b32 v2, v11 :: v_dual_add_nc_u32 v5, 19, v24
	s_delay_alu instid0(VALU_DEP_3) | instskip(NEXT) | instid1(VALU_DEP_2)
	v_lshrrev_b64 v[18:19], v24, v[10:11]
	v_lshlrev_b64 v[5:6], v5, 1
	s_delay_alu instid0(VALU_DEP_4) | instskip(NEXT) | instid1(VALU_DEP_1)
	v_not_b32_e32 v1, v1
	v_and_b32_e32 v1, v10, v1
	s_delay_alu instid0(VALU_DEP_4) | instskip(NEXT) | instid1(VALU_DEP_2)
	v_and_b32_e32 v10, 0x100000, v18
	v_cmp_eq_u64_e64 s0, v[1:2], v[5:6]
	s_delay_alu instid0(VALU_DEP_2) | instskip(SKIP_2) | instid1(VALU_DEP_3)
	v_cmp_eq_u64_e64 s1, 0, v[10:11]
	v_cndmask_b32_e64 v1, v7, 0xffffff8a, vcc_lo
	v_lshrrev_b32_e32 v2, 23, v18
	s_and_b32 vcc_lo, s1, s0
	s_delay_alu instid0(VALU_DEP_1) | instskip(SKIP_2) | instid1(VALU_DEP_2)
	v_add3_u32 v6, v1, v24, v2
	v_subrev_co_ci_u32_e32 v5, vcc_lo, 0, v18, vcc_lo
	s_mov_b32 s0, exec_lo
	v_add_nc_u32_e32 v7, -1, v6
	s_delay_alu instid0(VALU_DEP_2) | instskip(NEXT) | instid1(VALU_DEP_1)
	v_and_b32_e32 v1, 0xfffff, v5
                                        ; implicit-def: $vgpr5
	v_add_co_u32 v1, vcc_lo, v1, v18
	v_add_co_ci_u32_e32 v2, vcc_lo, 0, v19, vcc_lo
	s_delay_alu instid0(VALU_DEP_4)
	v_cmpx_ne_u32_e32 0, v7
	s_xor_b32 s0, exec_lo, s0
; %bb.170:                              ;   in Loop: Header=BB35_50 Depth=1
	s_delay_alu instid0(VALU_DEP_3) | instskip(SKIP_1) | instid1(VALU_DEP_2)
	v_and_b32_e32 v10, 0x1000000, v1
	v_bfe_u32 v5, v1, 24, 1
	v_cmp_eq_u64_e32 vcc_lo, 0, v[10:11]
	s_delay_alu instid0(VALU_DEP_2)
	v_lshrrev_b64 v[1:2], v5, v[1:2]
	v_cndmask_b32_e32 v5, v6, v7, vcc_lo
; %bb.171:                              ;   in Loop: Header=BB35_50 Depth=1
	s_and_not1_saveexec_b32 s0, s0
; %bb.172:                              ;   in Loop: Header=BB35_50 Depth=1
	s_delay_alu instid0(VALU_DEP_2)
	v_bfe_u32 v5, v1, 23, 1
; %bb.173:                              ;   in Loop: Header=BB35_50 Depth=1
	s_or_b32 exec_lo, exec_lo, s0
	s_delay_alu instid0(VALU_DEP_3) | instskip(NEXT) | instid1(VALU_DEP_2)
	v_lshrrev_b64 v[1:2], 20, v[1:2]
	v_cmp_gt_i32_e32 vcc_lo, 16, v5
	v_and_b32_e32 v3, 0x80, v3
	v_min_i32_e32 v6, 15, v5
	v_cmp_eq_u32_e64 s0, 0, v5
	v_dual_cndmask_b32 v2, 0, v2 :: v_dual_cndmask_b32 v1, 7, v1
	s_delay_alu instid0(VALU_DEP_3) | instskip(NEXT) | instid1(VALU_DEP_2)
	v_lshl_or_b32 v3, v6, 3, v3
	v_cmp_eq_u64_e32 vcc_lo, 0, v[1:2]
	s_delay_alu instid0(VALU_DEP_2)
	v_and_or_b32 v1, v1, 7, v3
	s_and_b32 s0, s0, vcc_lo
	s_delay_alu instid0(VALU_DEP_1) | instid1(SALU_CYCLE_1)
	v_cndmask_b32_e64 v1, v1, 0, s0
.LBB35_174:                             ;   in Loop: Header=BB35_50 Depth=1
	s_or_b32 exec_lo, exec_lo, s7
.LBB35_175:                             ;   in Loop: Header=BB35_50 Depth=1
	s_and_not1_saveexec_b32 s0, s6
	s_delay_alu instid0(SALU_CYCLE_1)
	s_or_b32 exec_lo, exec_lo, s0
.LBB35_176:                             ;   in Loop: Header=BB35_50 Depth=1
	s_and_not1_saveexec_b32 s0, s5
	s_delay_alu instid0(SALU_CYCLE_1) | instskip(SKIP_4) | instid1(VALU_DEP_1)
	s_or_b32 exec_lo, exec_lo, s0
	v_and_b32_e32 v2, 0xffff0000, v8
	s_mov_b32 s0, exec_lo
	global_store_b8 v[16:17], v1, off offset:6
                                        ; implicit-def: $vgpr1
	v_mul_f32_e32 v2, v22, v2
	v_and_b32_e32 v3, 0x7f800000, v2
	s_delay_alu instid0(VALU_DEP_1)
	v_cmpx_ne_u32_e32 0x7f800000, v3
	s_xor_b32 s0, exec_lo, s0
; %bb.177:                              ;   in Loop: Header=BB35_50 Depth=1
	v_bfe_u32 v1, v2, 16, 1
	s_delay_alu instid0(VALU_DEP_1)
	v_add3_u32 v1, v2, v1, 0x7fff
                                        ; implicit-def: $vgpr2
; %bb.178:                              ;   in Loop: Header=BB35_50 Depth=1
	s_and_not1_saveexec_b32 s0, s0
; %bb.179:                              ;   in Loop: Header=BB35_50 Depth=1
	v_and_b32_e32 v1, 0xffff, v2
	v_or_b32_e32 v3, 0x10000, v2
	s_delay_alu instid0(VALU_DEP_2) | instskip(NEXT) | instid1(VALU_DEP_2)
	v_cmp_eq_u32_e32 vcc_lo, 0, v1
	v_cndmask_b32_e32 v1, v3, v2, vcc_lo
; %bb.180:                              ;   in Loop: Header=BB35_50 Depth=1
	s_or_b32 exec_lo, exec_lo, s0
	s_delay_alu instid0(VALU_DEP_1) | instskip(SKIP_1) | instid1(VALU_DEP_1)
	v_and_b32_e32 v1, 0xffff0000, v1
	v_and_b32_e32 v2, 0xffff0000, v4
	v_mul_f32_e32 v1, v1, v2
	s_delay_alu instid0(VALU_DEP_1) | instskip(NEXT) | instid1(VALU_DEP_1)
	v_and_b32_e32 v2, 0x7f800000, v1
	v_cmp_ne_u32_e32 vcc_lo, 0x7f800000, v2
                                        ; implicit-def: $vgpr2
	s_and_saveexec_b32 s0, vcc_lo
	s_delay_alu instid0(SALU_CYCLE_1)
	s_xor_b32 s0, exec_lo, s0
; %bb.181:                              ;   in Loop: Header=BB35_50 Depth=1
	v_bfe_u32 v2, v1, 16, 1
	s_delay_alu instid0(VALU_DEP_1)
	v_add3_u32 v2, v1, v2, 0x7fff
                                        ; implicit-def: $vgpr1
; %bb.182:                              ;   in Loop: Header=BB35_50 Depth=1
	s_and_not1_saveexec_b32 s0, s0
; %bb.183:                              ;   in Loop: Header=BB35_50 Depth=1
	v_and_b32_e32 v2, 0xffff, v1
	v_or_b32_e32 v3, 0x10000, v1
	s_delay_alu instid0(VALU_DEP_2) | instskip(NEXT) | instid1(VALU_DEP_2)
	v_cmp_eq_u32_e32 vcc_lo, 0, v2
	v_cndmask_b32_e32 v2, v3, v1, vcc_lo
; %bb.184:                              ;   in Loop: Header=BB35_50 Depth=1
	s_or_b32 exec_lo, exec_lo, s0
	s_delay_alu instid0(VALU_DEP_1) | instskip(SKIP_1) | instid1(VALU_DEP_1)
	v_and_b32_e32 v1, 0xffff0000, v2
	s_mov_b32 s0, exec_lo
	v_mul_f32_e32 v1, v23, v1
	s_delay_alu instid0(VALU_DEP_1) | instskip(NEXT) | instid1(VALU_DEP_1)
	v_minmax_f32 v2, v1, s4, 0xc3600000
	v_and_b32_e32 v10, 0x7f800000, v2
	v_lshrrev_b32_e32 v3, 24, v2
	s_delay_alu instid0(VALU_DEP_1) | instskip(NEXT) | instid1(VALU_DEP_3)
	v_or_b32_e32 v1, 0x7f, v3
	v_cmpx_ne_u64_e32 0x7f800000, v[10:11]
	s_xor_b32 s5, exec_lo, s0
	s_cbranch_execz .LBB35_49
; %bb.185:                              ;   in Loop: Header=BB35_50 Depth=1
	v_and_b32_e32 v10, 0x7fffffff, v2
	s_mov_b32 s0, exec_lo
	s_delay_alu instid0(VALU_DEP_1)
	v_cmpx_gt_u64_e32 0x43700001, v[10:11]
	s_xor_b32 s6, exec_lo, s0
	s_cbranch_execz .LBB35_48
; %bb.186:                              ;   in Loop: Header=BB35_50 Depth=1
	v_mov_b32_e32 v1, 0
	s_mov_b32 s7, exec_lo
	v_cmpx_ne_u32_e32 0, v2
	s_cbranch_execz .LBB35_47
; %bb.187:                              ;   in Loop: Header=BB35_50 Depth=1
	v_bfe_u32 v6, v2, 23, 8
	v_and_b32_e32 v2, 0x7fffff, v2
	s_delay_alu instid0(VALU_DEP_2) | instskip(SKIP_2) | instid1(VALU_DEP_3)
	v_sub_nc_u32_e64 v1, 0x78, v6 clamp
	v_cmp_eq_u32_e32 vcc_lo, 0, v6
	v_add_nc_u32_e32 v6, 0xffffff89, v6
	v_cndmask_b32_e64 v18, v1, 0x77, vcc_lo
	v_or_b32_e32 v1, 0x800000, v2
	s_delay_alu instid0(VALU_DEP_2) | instskip(NEXT) | instid1(VALU_DEP_2)
	v_add_nc_u32_e32 v4, 20, v18
	v_cndmask_b32_e32 v10, v1, v2, vcc_lo
	s_delay_alu instid0(VALU_DEP_2) | instskip(SKIP_1) | instid1(VALU_DEP_3)
	v_lshlrev_b64 v[1:2], v4, -1
	v_add_nc_u32_e32 v4, 19, v18
	v_lshrrev_b64 v[7:8], v18, v[10:11]
	s_delay_alu instid0(VALU_DEP_2) | instskip(NEXT) | instid1(VALU_DEP_4)
	v_lshlrev_b64 v[4:5], v4, 1
	v_not_b32_e32 v1, v1
	s_delay_alu instid0(VALU_DEP_1) | instskip(NEXT) | instid1(VALU_DEP_4)
	v_dual_mov_b32 v2, v11 :: v_dual_and_b32 v1, v10, v1
	v_and_b32_e32 v10, 0x100000, v7
	s_delay_alu instid0(VALU_DEP_2) | instskip(NEXT) | instid1(VALU_DEP_2)
	v_cmp_eq_u64_e64 s0, v[1:2], v[4:5]
	v_cmp_eq_u64_e64 s1, 0, v[10:11]
	v_cndmask_b32_e64 v1, v6, 0xffffff8a, vcc_lo
	v_lshrrev_b32_e32 v2, 23, v7
	s_delay_alu instid0(VALU_DEP_3) | instskip(NEXT) | instid1(VALU_DEP_1)
	s_and_b32 vcc_lo, s1, s0
	v_add3_u32 v5, v1, v18, v2
	v_subrev_co_ci_u32_e32 v4, vcc_lo, 0, v7, vcc_lo
	s_mov_b32 s0, exec_lo
	s_delay_alu instid0(VALU_DEP_2) | instskip(NEXT) | instid1(VALU_DEP_2)
	v_add_nc_u32_e32 v6, -1, v5
	v_and_b32_e32 v1, 0xfffff, v4
                                        ; implicit-def: $vgpr4
	s_delay_alu instid0(VALU_DEP_1) | instskip(SKIP_1) | instid1(VALU_DEP_4)
	v_add_co_u32 v1, vcc_lo, v1, v7
	v_add_co_ci_u32_e32 v2, vcc_lo, 0, v8, vcc_lo
	v_cmpx_ne_u32_e32 0, v6
	s_xor_b32 s0, exec_lo, s0
; %bb.188:                              ;   in Loop: Header=BB35_50 Depth=1
	s_delay_alu instid0(VALU_DEP_3) | instskip(SKIP_1) | instid1(VALU_DEP_2)
	v_and_b32_e32 v10, 0x1000000, v1
	v_bfe_u32 v4, v1, 24, 1
	v_cmp_eq_u64_e32 vcc_lo, 0, v[10:11]
	s_delay_alu instid0(VALU_DEP_2)
	v_lshrrev_b64 v[1:2], v4, v[1:2]
	v_cndmask_b32_e32 v4, v5, v6, vcc_lo
; %bb.189:                              ;   in Loop: Header=BB35_50 Depth=1
	s_and_not1_saveexec_b32 s0, s0
	s_cbranch_execz .LBB35_46
; %bb.190:                              ;   in Loop: Header=BB35_50 Depth=1
	s_delay_alu instid0(VALU_DEP_2)
	v_bfe_u32 v4, v1, 23, 1
	s_branch .LBB35_46
.LBB35_191:
	s_nop 0
	s_sendmsg sendmsg(MSG_DEALLOC_VGPRS)
	s_endpgm
	.section	.rodata,"a",@progbits
	.p2align	6, 0x0
	.amdhsa_kernel _ZN4vllm42fused_add_rms_norm_static_fp8_quant_kernelIN3c108BFloat16ELi8ENS1_15Float8_e4m3fnuzEEENSt9enable_ifIXaagtT0_Li0Esr12_typeConvertIT_EE6existsEvE4typeEPT1_PS5_iSA_PKS5_PKffii
		.amdhsa_group_segment_fixed_size 132
		.amdhsa_private_segment_fixed_size 0
		.amdhsa_kernarg_size 320
		.amdhsa_user_sgpr_count 15
		.amdhsa_user_sgpr_dispatch_ptr 0
		.amdhsa_user_sgpr_queue_ptr 0
		.amdhsa_user_sgpr_kernarg_segment_ptr 1
		.amdhsa_user_sgpr_dispatch_id 0
		.amdhsa_user_sgpr_private_segment_size 0
		.amdhsa_wavefront_size32 1
		.amdhsa_uses_dynamic_stack 0
		.amdhsa_enable_private_segment 0
		.amdhsa_system_sgpr_workgroup_id_x 1
		.amdhsa_system_sgpr_workgroup_id_y 0
		.amdhsa_system_sgpr_workgroup_id_z 0
		.amdhsa_system_sgpr_workgroup_info 0
		.amdhsa_system_vgpr_workitem_id 0
		.amdhsa_next_free_vgpr 29
		.amdhsa_next_free_sgpr 21
		.amdhsa_reserve_vcc 1
		.amdhsa_float_round_mode_32 0
		.amdhsa_float_round_mode_16_64 0
		.amdhsa_float_denorm_mode_32 3
		.amdhsa_float_denorm_mode_16_64 3
		.amdhsa_dx10_clamp 1
		.amdhsa_ieee_mode 1
		.amdhsa_fp16_overflow 0
		.amdhsa_workgroup_processor_mode 1
		.amdhsa_memory_ordered 1
		.amdhsa_forward_progress 0
		.amdhsa_shared_vgpr_count 0
		.amdhsa_exception_fp_ieee_invalid_op 0
		.amdhsa_exception_fp_denorm_src 0
		.amdhsa_exception_fp_ieee_div_zero 0
		.amdhsa_exception_fp_ieee_overflow 0
		.amdhsa_exception_fp_ieee_underflow 0
		.amdhsa_exception_fp_ieee_inexact 0
		.amdhsa_exception_int_div_zero 0
	.end_amdhsa_kernel
	.section	.text._ZN4vllm42fused_add_rms_norm_static_fp8_quant_kernelIN3c108BFloat16ELi8ENS1_15Float8_e4m3fnuzEEENSt9enable_ifIXaagtT0_Li0Esr12_typeConvertIT_EE6existsEvE4typeEPT1_PS5_iSA_PKS5_PKffii,"axG",@progbits,_ZN4vllm42fused_add_rms_norm_static_fp8_quant_kernelIN3c108BFloat16ELi8ENS1_15Float8_e4m3fnuzEEENSt9enable_ifIXaagtT0_Li0Esr12_typeConvertIT_EE6existsEvE4typeEPT1_PS5_iSA_PKS5_PKffii,comdat
.Lfunc_end35:
	.size	_ZN4vllm42fused_add_rms_norm_static_fp8_quant_kernelIN3c108BFloat16ELi8ENS1_15Float8_e4m3fnuzEEENSt9enable_ifIXaagtT0_Li0Esr12_typeConvertIT_EE6existsEvE4typeEPT1_PS5_iSA_PKS5_PKffii, .Lfunc_end35-_ZN4vllm42fused_add_rms_norm_static_fp8_quant_kernelIN3c108BFloat16ELi8ENS1_15Float8_e4m3fnuzEEENSt9enable_ifIXaagtT0_Li0Esr12_typeConvertIT_EE6existsEvE4typeEPT1_PS5_iSA_PKS5_PKffii
                                        ; -- End function
	.section	.AMDGPU.csdata,"",@progbits
; Kernel info:
; codeLenInByte = 8608
; NumSgprs: 23
; NumVgprs: 29
; ScratchSize: 0
; MemoryBound: 0
; FloatMode: 240
; IeeeMode: 1
; LDSByteSize: 132 bytes/workgroup (compile time only)
; SGPRBlocks: 2
; VGPRBlocks: 3
; NumSGPRsForWavesPerEU: 23
; NumVGPRsForWavesPerEU: 29
; Occupancy: 16
; WaveLimiterHint : 0
; COMPUTE_PGM_RSRC2:SCRATCH_EN: 0
; COMPUTE_PGM_RSRC2:USER_SGPR: 15
; COMPUTE_PGM_RSRC2:TRAP_HANDLER: 0
; COMPUTE_PGM_RSRC2:TGID_X_EN: 1
; COMPUTE_PGM_RSRC2:TGID_Y_EN: 0
; COMPUTE_PGM_RSRC2:TGID_Z_EN: 0
; COMPUTE_PGM_RSRC2:TIDIG_COMP_CNT: 0
	.section	.text._ZN4vllm42fused_add_rms_norm_static_fp8_quant_kernelIfLi0EN3c1013Float8_e4m3fnEEENSt9enable_ifIXooeqT0_Li0Entsr12_typeConvertIT_EE6existsEvE4typeEPT1_PS4_iS9_PKS4_PKffii,"axG",@progbits,_ZN4vllm42fused_add_rms_norm_static_fp8_quant_kernelIfLi0EN3c1013Float8_e4m3fnEEENSt9enable_ifIXooeqT0_Li0Entsr12_typeConvertIT_EE6existsEvE4typeEPT1_PS4_iS9_PKS4_PKffii,comdat
	.protected	_ZN4vllm42fused_add_rms_norm_static_fp8_quant_kernelIfLi0EN3c1013Float8_e4m3fnEEENSt9enable_ifIXooeqT0_Li0Entsr12_typeConvertIT_EE6existsEvE4typeEPT1_PS4_iS9_PKS4_PKffii ; -- Begin function _ZN4vllm42fused_add_rms_norm_static_fp8_quant_kernelIfLi0EN3c1013Float8_e4m3fnEEENSt9enable_ifIXooeqT0_Li0Entsr12_typeConvertIT_EE6existsEvE4typeEPT1_PS4_iS9_PKS4_PKffii
	.globl	_ZN4vllm42fused_add_rms_norm_static_fp8_quant_kernelIfLi0EN3c1013Float8_e4m3fnEEENSt9enable_ifIXooeqT0_Li0Entsr12_typeConvertIT_EE6existsEvE4typeEPT1_PS4_iS9_PKS4_PKffii
	.p2align	8
	.type	_ZN4vllm42fused_add_rms_norm_static_fp8_quant_kernelIfLi0EN3c1013Float8_e4m3fnEEENSt9enable_ifIXooeqT0_Li0Entsr12_typeConvertIT_EE6existsEvE4typeEPT1_PS4_iS9_PKS4_PKffii,@function
_ZN4vllm42fused_add_rms_norm_static_fp8_quant_kernelIfLi0EN3c1013Float8_e4m3fnEEENSt9enable_ifIXooeqT0_Li0Entsr12_typeConvertIT_EE6existsEvE4typeEPT1_PS4_iS9_PKS4_PKffii: ; @_ZN4vllm42fused_add_rms_norm_static_fp8_quant_kernelIfLi0EN3c1013Float8_e4m3fnEEENSt9enable_ifIXooeqT0_Li0Entsr12_typeConvertIT_EE6existsEvE4typeEPT1_PS4_iS9_PKS4_PKffii
; %bb.0:
	s_clause 0x1
	s_load_b32 s3, s[0:1], 0x38
	s_load_b64 s[8:9], s[0:1], 0x18
	s_mov_b32 s4, exec_lo
                                        ; implicit-def: $sgpr13
                                        ; implicit-def: $sgpr12
	s_waitcnt lgkmcnt(0)
	v_cmp_gt_i32_e64 s2, s3, v0
	v_cmpx_le_i32_e64 s3, v0
	s_xor_b32 s4, exec_lo, s4
	s_cbranch_execz .LBB36_2
; %bb.1:
	s_load_b32 s5, s[0:1], 0x4c
	s_mov_b32 s13, 0
	s_waitcnt lgkmcnt(0)
	s_and_b32 s12, s5, 0xffff
.LBB36_2:
	s_or_saveexec_b32 s16, s4
	s_clause 0x1
	s_load_b64 s[10:11], s[0:1], 0x0
	s_load_b128 s[4:7], s[0:1], 0x20
	v_dual_mov_b32 v3, s13 :: v_dual_mov_b32 v6, s12
	s_mul_i32 s14, s15, s3
	s_xor_b32 exec_lo, exec_lo, s16
	s_cbranch_execz .LBB36_6
; %bb.3:
	s_clause 0x2
	s_load_b32 s17, s[0:1], 0x10
	s_load_b32 s18, s[0:1], 0x4c
	s_load_b64 s[12:13], s[0:1], 0x8
	v_dual_mov_b32 v2, 0 :: v_dual_mov_b32 v3, 0
	v_mov_b32_e32 v4, v0
	s_waitcnt lgkmcnt(0)
	s_mul_i32 s17, s15, s17
	s_and_b32 s15, s18, 0xffff
	s_mov_b32 s18, 0
	.p2align	6
.LBB36_4:                               ; =>This Inner Loop Header: Depth=1
	v_add_nc_u32_e32 v1, s17, v4
	s_delay_alu instid0(VALU_DEP_1) | instskip(SKIP_1) | instid1(VALU_DEP_1)
	v_lshlrev_b64 v[5:6], 2, v[1:2]
	v_add_nc_u32_e32 v1, s14, v4
	v_lshlrev_b64 v[7:8], 2, v[1:2]
	s_delay_alu instid0(VALU_DEP_3) | instskip(NEXT) | instid1(VALU_DEP_4)
	v_add_co_u32 v5, vcc_lo, s12, v5
	v_add_co_ci_u32_e32 v6, vcc_lo, s13, v6, vcc_lo
	s_delay_alu instid0(VALU_DEP_3) | instskip(NEXT) | instid1(VALU_DEP_4)
	v_add_co_u32 v7, vcc_lo, s8, v7
	v_add_co_ci_u32_e32 v8, vcc_lo, s9, v8, vcc_lo
	global_load_b32 v1, v[5:6], off
	global_load_b32 v5, v[7:8], off
	s_waitcnt vmcnt(0)
	v_dual_add_f32 v1, v1, v5 :: v_dual_add_nc_u32 v4, s15, v4
	s_delay_alu instid0(VALU_DEP_1) | instskip(NEXT) | instid1(VALU_DEP_2)
	v_cmp_le_i32_e32 vcc_lo, s3, v4
	v_fmac_f32_e32 v3, v1, v1
	s_or_b32 s18, vcc_lo, s18
	global_store_b32 v[7:8], v1, off
	s_and_not1_b32 exec_lo, exec_lo, s18
	s_cbranch_execnz .LBB36_4
; %bb.5:
	s_or_b32 exec_lo, exec_lo, s18
	v_mov_b32_e32 v6, s15
.LBB36_6:
	s_or_b32 exec_lo, exec_lo, s16
	v_mbcnt_lo_u32_b32 v1, -1, 0
	v_and_b32_e32 v4, 0x3e0, v0
	s_mov_b32 s12, exec_lo
	s_delay_alu instid0(VALU_DEP_2) | instskip(NEXT) | instid1(VALU_DEP_2)
	v_cmp_ne_u32_e32 vcc_lo, 31, v1
	v_sub_nc_u32_e64 v13, v6, v4 clamp
	v_add_nc_u32_e32 v4, 1, v1
	v_add_co_ci_u32_e32 v2, vcc_lo, 0, v1, vcc_lo
	v_cmp_gt_u32_e32 vcc_lo, 30, v1
	s_delay_alu instid0(VALU_DEP_2)
	v_lshlrev_b32_e32 v2, 2, v2
	v_cndmask_b32_e64 v7, 0, 1, vcc_lo
	v_cmp_lt_u32_e32 vcc_lo, v4, v13
	ds_bpermute_b32 v5, v2, v3
	s_waitcnt lgkmcnt(0)
	v_dual_add_f32 v8, v3, v5 :: v_dual_lshlrev_b32 v7, 1, v7
	s_delay_alu instid0(VALU_DEP_1) | instskip(NEXT) | instid1(VALU_DEP_2)
	v_add_lshl_u32 v5, v7, v1, 2
	v_cndmask_b32_e32 v8, v3, v8, vcc_lo
	v_cmp_gt_u32_e32 vcc_lo, 28, v1
	v_cndmask_b32_e64 v3, 0, 1, vcc_lo
	s_delay_alu instid0(VALU_DEP_1) | instskip(SKIP_3) | instid1(VALU_DEP_1)
	v_lshlrev_b32_e32 v9, 2, v3
	ds_bpermute_b32 v7, v5, v8
	s_waitcnt lgkmcnt(0)
	v_dual_add_f32 v10, v8, v7 :: v_dual_add_nc_u32 v3, 2, v1
	v_cmp_lt_u32_e32 vcc_lo, v3, v13
	v_add_lshl_u32 v7, v9, v1, 2
	s_delay_alu instid0(VALU_DEP_3) | instskip(SKIP_2) | instid1(VALU_DEP_1)
	v_cndmask_b32_e32 v10, v8, v10, vcc_lo
	v_cmp_gt_u32_e32 vcc_lo, 24, v1
	v_cndmask_b32_e64 v8, 0, 1, vcc_lo
	v_lshlrev_b32_e32 v11, 3, v8
	ds_bpermute_b32 v9, v7, v10
	v_add_nc_u32_e32 v8, 4, v1
	s_delay_alu instid0(VALU_DEP_1) | instskip(SKIP_3) | instid1(VALU_DEP_2)
	v_cmp_lt_u32_e32 vcc_lo, v8, v13
	s_waitcnt lgkmcnt(0)
	v_add_f32_e32 v12, v10, v9
	v_add_lshl_u32 v9, v11, v1, 2
	v_cndmask_b32_e32 v12, v10, v12, vcc_lo
	v_cmp_gt_u32_e32 vcc_lo, 16, v1
	ds_bpermute_b32 v11, v9, v12
	v_cndmask_b32_e64 v10, 0, 1, vcc_lo
	s_delay_alu instid0(VALU_DEP_1) | instskip(SKIP_1) | instid1(VALU_DEP_1)
	v_lshlrev_b32_e32 v14, 4, v10
	v_add_nc_u32_e32 v10, 8, v1
	v_cmp_lt_u32_e32 vcc_lo, v10, v13
	s_waitcnt lgkmcnt(0)
	v_add_f32_e32 v15, v12, v11
	v_add_lshl_u32 v11, v14, v1, 2
	s_delay_alu instid0(VALU_DEP_2)
	v_cndmask_b32_e32 v14, v12, v15, vcc_lo
	v_add_nc_u32_e32 v12, 16, v1
	ds_bpermute_b32 v15, v11, v14
	v_cmp_lt_u32_e32 vcc_lo, v12, v13
	s_waitcnt lgkmcnt(0)
	v_add_f32_e32 v15, v14, v15
	s_delay_alu instid0(VALU_DEP_1)
	v_cndmask_b32_e32 v13, v14, v15, vcc_lo
	v_cmpx_eq_u32_e32 0, v1
	s_cbranch_execz .LBB36_8
; %bb.7:
	v_lshrrev_b32_e32 v14, 3, v0
	s_delay_alu instid0(VALU_DEP_1)
	v_and_b32_e32 v14, 0x7c, v14
	ds_store_b32 v14, v13
.LBB36_8:
	s_or_b32 exec_lo, exec_lo, s12
	s_delay_alu instid0(SALU_CYCLE_1)
	s_mov_b32 s12, exec_lo
	s_waitcnt lgkmcnt(0)
	s_waitcnt_vscnt null, 0x0
	s_barrier
	buffer_gl0_inv
	v_cmpx_gt_u32_e32 32, v0
	s_cbranch_execz .LBB36_10
; %bb.9:
	v_lshlrev_b32_e32 v1, 2, v1
	v_add_nc_u32_e32 v13, 31, v6
	ds_load_b32 v1, v1
	v_lshrrev_b32_e32 v13, 5, v13
	s_delay_alu instid0(VALU_DEP_1) | instskip(SKIP_4) | instid1(VALU_DEP_1)
	v_cmp_lt_u32_e32 vcc_lo, v4, v13
	s_waitcnt lgkmcnt(0)
	ds_bpermute_b32 v2, v2, v1
	s_waitcnt lgkmcnt(0)
	v_add_f32_e32 v2, v1, v2
	v_cndmask_b32_e32 v1, v1, v2, vcc_lo
	v_cmp_lt_u32_e32 vcc_lo, v3, v13
	ds_bpermute_b32 v2, v5, v1
	s_waitcnt lgkmcnt(0)
	v_add_f32_e32 v2, v1, v2
	s_delay_alu instid0(VALU_DEP_1) | instskip(SKIP_4) | instid1(VALU_DEP_1)
	v_cndmask_b32_e32 v1, v1, v2, vcc_lo
	v_cmp_lt_u32_e32 vcc_lo, v8, v13
	ds_bpermute_b32 v2, v7, v1
	s_waitcnt lgkmcnt(0)
	v_add_f32_e32 v2, v1, v2
	v_cndmask_b32_e32 v1, v1, v2, vcc_lo
	v_cmp_lt_u32_e32 vcc_lo, v10, v13
	ds_bpermute_b32 v2, v9, v1
	s_waitcnt lgkmcnt(0)
	v_add_f32_e32 v2, v1, v2
	s_delay_alu instid0(VALU_DEP_1) | instskip(SKIP_4) | instid1(VALU_DEP_1)
	v_cndmask_b32_e32 v1, v1, v2, vcc_lo
	v_cmp_lt_u32_e32 vcc_lo, v12, v13
	ds_bpermute_b32 v2, v11, v1
	s_waitcnt lgkmcnt(0)
	v_add_f32_e32 v2, v1, v2
	v_cndmask_b32_e32 v13, v1, v2, vcc_lo
.LBB36_10:
	s_or_b32 exec_lo, exec_lo, s12
	s_delay_alu instid0(SALU_CYCLE_1)
	s_mov_b32 s12, exec_lo
	v_cmpx_eq_u32_e32 0, v0
	s_cbranch_execz .LBB36_12
; %bb.11:
	v_cvt_f32_i32_e32 v1, s3
	s_load_b32 s0, s[0:1], 0x30
	s_delay_alu instid0(VALU_DEP_1) | instskip(SKIP_1) | instid1(VALU_DEP_2)
	v_div_scale_f32 v2, null, v1, v1, v13
	v_div_scale_f32 v5, vcc_lo, v13, v1, v13
	v_rcp_f32_e32 v3, v2
	s_waitcnt_depctr 0xfff
	v_fma_f32 v4, -v2, v3, 1.0
	s_delay_alu instid0(VALU_DEP_1) | instskip(NEXT) | instid1(VALU_DEP_1)
	v_fmac_f32_e32 v3, v4, v3
	v_mul_f32_e32 v4, v5, v3
	s_delay_alu instid0(VALU_DEP_1) | instskip(NEXT) | instid1(VALU_DEP_1)
	v_fma_f32 v7, -v2, v4, v5
	v_fmac_f32_e32 v4, v7, v3
	s_delay_alu instid0(VALU_DEP_1) | instskip(NEXT) | instid1(VALU_DEP_1)
	v_fma_f32 v2, -v2, v4, v5
	v_div_fmas_f32 v2, v2, v3, v4
	s_delay_alu instid0(VALU_DEP_1) | instskip(SKIP_1) | instid1(VALU_DEP_1)
	v_div_fixup_f32 v1, v2, v1, v13
	s_waitcnt lgkmcnt(0)
	v_add_f32_e32 v1, s0, v1
	s_delay_alu instid0(VALU_DEP_1) | instskip(SKIP_1) | instid1(VALU_DEP_2)
	v_mul_f32_e32 v2, 0x4b800000, v1
	v_cmp_gt_f32_e32 vcc_lo, 0x800000, v1
	v_cndmask_b32_e32 v1, v1, v2, vcc_lo
	s_delay_alu instid0(VALU_DEP_1) | instskip(SKIP_2) | instid1(VALU_DEP_1)
	v_rsq_f32_e32 v1, v1
	s_waitcnt_depctr 0xfff
	v_mul_f32_e32 v2, 0x45800000, v1
	v_dual_cndmask_b32 v1, v1, v2 :: v_dual_mov_b32 v2, 0
	ds_store_b32 v2, v1 offset:128
.LBB36_12:
	s_or_b32 exec_lo, exec_lo, s12
	s_waitcnt lgkmcnt(0)
	s_barrier
	buffer_gl0_inv
	s_and_saveexec_b32 s0, s2
	s_cbranch_execz .LBB36_31
; %bb.13:
	s_load_b32 s0, s[6:7], 0x0
	s_mov_b32 s2, 0
	s_mov_b32 s6, 0x43e00000
	s_waitcnt lgkmcnt(0)
	v_div_scale_f32 v1, null, s0, s0, 1.0
	v_div_scale_f32 v4, vcc_lo, 1.0, s0, 1.0
	s_delay_alu instid0(VALU_DEP_2) | instskip(SKIP_2) | instid1(VALU_DEP_1)
	v_rcp_f32_e32 v2, v1
	s_waitcnt_depctr 0xfff
	v_fma_f32 v3, -v1, v2, 1.0
	v_dual_fmac_f32 v2, v3, v2 :: v_dual_mov_b32 v3, 0
	s_delay_alu instid0(VALU_DEP_1) | instskip(NEXT) | instid1(VALU_DEP_1)
	v_mul_f32_e32 v5, v4, v2
	v_fma_f32 v7, -v1, v5, v4
	s_delay_alu instid0(VALU_DEP_1) | instskip(SKIP_2) | instid1(VALU_DEP_1)
	v_fmac_f32_e32 v5, v7, v2
	ds_load_b32 v7, v3 offset:128
	v_fma_f32 v1, -v1, v5, v4
	v_div_fmas_f32 v1, v1, v2, v5
	s_delay_alu instid0(VALU_DEP_1)
	v_div_fixup_f32 v8, v1, s0, 1.0
	s_branch .LBB36_15
.LBB36_14:                              ;   in Loop: Header=BB36_15 Depth=1
	s_or_b32 exec_lo, exec_lo, s0
	v_add_nc_u32_e32 v0, v0, v6
	v_add_co_u32 v1, s0, s10, v2
	s_delay_alu instid0(VALU_DEP_1) | instskip(NEXT) | instid1(VALU_DEP_3)
	v_add_co_ci_u32_e64 v2, null, s11, 0, s0
	v_cmp_le_i32_e32 vcc_lo, s3, v0
	global_store_b8 v[1:2], v9, off
	s_or_b32 s2, vcc_lo, s2
	s_delay_alu instid0(SALU_CYCLE_1)
	s_and_not1_b32 exec_lo, exec_lo, s2
	s_cbranch_execz .LBB36_31
.LBB36_15:                              ; =>This Inner Loop Header: Depth=1
	v_add_nc_u32_e32 v2, s14, v0
	v_ashrrev_i32_e32 v1, 31, v0
	v_mov_b32_e32 v13, v3
	s_mov_b32 s0, exec_lo
	s_delay_alu instid0(VALU_DEP_3) | instskip(NEXT) | instid1(VALU_DEP_3)
	v_lshlrev_b64 v[4:5], 2, v[2:3]
	v_lshlrev_b64 v[9:10], 2, v[0:1]
	s_delay_alu instid0(VALU_DEP_2) | instskip(NEXT) | instid1(VALU_DEP_3)
	v_add_co_u32 v4, vcc_lo, s8, v4
	v_add_co_ci_u32_e32 v5, vcc_lo, s9, v5, vcc_lo
	global_load_b32 v1, v[4:5], off
	v_add_co_u32 v4, vcc_lo, s4, v9
	v_add_co_ci_u32_e32 v5, vcc_lo, s5, v10, vcc_lo
	global_load_b32 v4, v[4:5], off
	v_mov_b32_e32 v5, v3
	s_waitcnt vmcnt(1) lgkmcnt(0)
	v_mul_f32_e32 v1, v1, v7
	s_waitcnt vmcnt(0)
	s_delay_alu instid0(VALU_DEP_1) | instskip(NEXT) | instid1(VALU_DEP_1)
	v_mul_f32_e32 v1, v1, v4
	v_mul_f32_e32 v1, v8, v1
	s_delay_alu instid0(VALU_DEP_1) | instskip(NEXT) | instid1(VALU_DEP_1)
	v_minmax_f32 v10, v1, s6, 0xc3e00000
	v_and_b32_e32 v4, 0x7fffff, v10
	v_lshrrev_b32_e32 v11, 24, v10
	v_and_b32_e32 v12, 0x7f800000, v10
	s_delay_alu instid0(VALU_DEP_2) | instskip(NEXT) | instid1(VALU_DEP_1)
	v_and_b32_e32 v1, 0x80, v11
	v_or_b32_e32 v9, 0x7e, v1
	s_delay_alu instid0(VALU_DEP_3)
	v_cmpx_ne_u64_e32 0x7f800000, v[12:13]
	s_xor_b32 s7, exec_lo, s0
	s_cbranch_execz .LBB36_29
; %bb.16:                               ;   in Loop: Header=BB36_15 Depth=1
	v_dual_mov_b32 v12, v3 :: v_dual_and_b32 v11, 0x7fffffff, v10
	s_mov_b32 s0, exec_lo
	s_delay_alu instid0(VALU_DEP_1)
	v_cmpx_gt_u64_e32 0x43e00001, v[11:12]
	s_xor_b32 s12, exec_lo, s0
	s_cbranch_execz .LBB36_28
; %bb.17:                               ;   in Loop: Header=BB36_15 Depth=1
	v_mov_b32_e32 v9, 0
	s_mov_b32 s13, exec_lo
	v_cmpx_ne_u32_e32 0, v10
	s_cbranch_execz .LBB36_27
; %bb.18:                               ;   in Loop: Header=BB36_15 Depth=1
	v_bfe_u32 v11, v10, 23, 8
	s_delay_alu instid0(VALU_DEP_1) | instskip(SKIP_2) | instid1(VALU_DEP_3)
	v_sub_nc_u32_e64 v9, 0x79, v11 clamp
	v_cmp_eq_u32_e32 vcc_lo, 0, v11
	v_add_nc_u32_e32 v11, 0xffffff88, v11
	v_cndmask_b32_e64 v16, v9, 0x78, vcc_lo
	v_or_b32_e32 v9, 0x800000, v4
	s_delay_alu instid0(VALU_DEP_2) | instskip(NEXT) | instid1(VALU_DEP_2)
	v_add_nc_u32_e32 v10, 20, v16
	v_cndmask_b32_e32 v4, v9, v4, vcc_lo
	v_add_nc_u32_e32 v14, 19, v16
	s_delay_alu instid0(VALU_DEP_3) | instskip(NEXT) | instid1(VALU_DEP_3)
	v_lshlrev_b64 v[9:10], v10, -1
	v_lshrrev_b64 v[12:13], v16, v[4:5]
	s_delay_alu instid0(VALU_DEP_3) | instskip(NEXT) | instid1(VALU_DEP_3)
	v_lshlrev_b64 v[14:15], v14, 1
	v_not_b32_e32 v5, v10
	s_delay_alu instid0(VALU_DEP_4) | instskip(NEXT) | instid1(VALU_DEP_4)
	v_not_b32_e32 v17, v9
	v_dual_mov_b32 v10, v3 :: v_dual_and_b32 v9, 0x100000, v12
	s_delay_alu instid0(VALU_DEP_3) | instskip(NEXT) | instid1(VALU_DEP_3)
	v_and_b32_e32 v5, 0, v5
	v_and_b32_e32 v4, v4, v17
	s_delay_alu instid0(VALU_DEP_3) | instskip(NEXT) | instid1(VALU_DEP_2)
	v_cmp_eq_u64_e64 s0, 0, v[9:10]
	v_cmp_eq_u64_e64 s1, v[4:5], v[14:15]
	v_cndmask_b32_e64 v4, v11, 0xffffff89, vcc_lo
	v_lshrrev_b32_e32 v5, 23, v12
	s_delay_alu instid0(VALU_DEP_3) | instskip(NEXT) | instid1(VALU_DEP_1)
	s_and_b32 vcc_lo, s0, s1
	v_add3_u32 v9, v4, v16, v5
	v_subrev_co_ci_u32_e32 v10, vcc_lo, 0, v12, vcc_lo
	s_mov_b32 s0, exec_lo
	s_delay_alu instid0(VALU_DEP_2) | instskip(NEXT) | instid1(VALU_DEP_2)
	v_add_nc_u32_e32 v11, -1, v9
	v_and_b32_e32 v4, 0xfffff, v10
                                        ; implicit-def: $vgpr10
	s_delay_alu instid0(VALU_DEP_1) | instskip(SKIP_1) | instid1(VALU_DEP_4)
	v_add_co_u32 v4, vcc_lo, v4, v12
	v_add_co_ci_u32_e32 v5, vcc_lo, 0, v13, vcc_lo
	v_cmpx_ne_u32_e32 0, v11
	s_xor_b32 s0, exec_lo, s0
; %bb.19:                               ;   in Loop: Header=BB36_15 Depth=1
	s_delay_alu instid0(VALU_DEP_3) | instskip(SKIP_1) | instid1(VALU_DEP_2)
	v_dual_mov_b32 v13, v3 :: v_dual_and_b32 v12, 0x1000000, v4
	v_bfe_u32 v10, v4, 24, 1
	v_cmp_eq_u64_e32 vcc_lo, 0, v[12:13]
	s_delay_alu instid0(VALU_DEP_2)
	v_lshrrev_b64 v[4:5], v10, v[4:5]
	v_cndmask_b32_e32 v10, v9, v11, vcc_lo
; %bb.20:                               ;   in Loop: Header=BB36_15 Depth=1
	s_and_not1_saveexec_b32 s0, s0
; %bb.21:                               ;   in Loop: Header=BB36_15 Depth=1
	s_delay_alu instid0(VALU_DEP_2)
	v_bfe_u32 v10, v4, 23, 1
; %bb.22:                               ;   in Loop: Header=BB36_15 Depth=1
	s_or_b32 exec_lo, exec_lo, s0
	s_delay_alu instid0(VALU_DEP_3) | instskip(NEXT) | instid1(VALU_DEP_2)
	v_lshrrev_b64 v[4:5], 20, v[4:5]
	v_cmp_gt_i32_e32 vcc_lo, 16, v10
	v_cmp_ne_u32_e64 s0, 0, v10
                                        ; implicit-def: $vgpr9
	s_delay_alu instid0(VALU_DEP_3) | instskip(NEXT) | instid1(VALU_DEP_1)
	v_dual_cndmask_b32 v5, 0, v5 :: v_dual_cndmask_b32 v4, 7, v4
	v_cmp_ne_u64_e32 vcc_lo, 0, v[4:5]
	s_delay_alu instid0(VALU_DEP_3) | instskip(NEXT) | instid1(SALU_CYCLE_1)
	s_or_b32 s0, s0, vcc_lo
	s_and_saveexec_b32 s1, s0
	s_delay_alu instid0(SALU_CYCLE_1)
	s_xor_b32 s0, exec_lo, s1
; %bb.23:                               ;   in Loop: Header=BB36_15 Depth=1
	v_min_i32_e32 v5, 15, v10
	s_delay_alu instid0(VALU_DEP_1) | instskip(NEXT) | instid1(VALU_DEP_1)
	v_lshl_or_b32 v1, v5, 3, v1
	v_and_or_b32 v9, v4, 7, v1
                                        ; implicit-def: $vgpr1
; %bb.24:                               ;   in Loop: Header=BB36_15 Depth=1
	s_and_not1_saveexec_b32 s0, s0
; %bb.25:                               ;   in Loop: Header=BB36_15 Depth=1
	v_mov_b32_e32 v9, v1
; %bb.26:                               ;   in Loop: Header=BB36_15 Depth=1
	s_or_b32 exec_lo, exec_lo, s0
.LBB36_27:                              ;   in Loop: Header=BB36_15 Depth=1
	s_delay_alu instid0(SALU_CYCLE_1)
	s_or_b32 exec_lo, exec_lo, s13
.LBB36_28:                              ;   in Loop: Header=BB36_15 Depth=1
	s_and_not1_saveexec_b32 s0, s12
	s_delay_alu instid0(SALU_CYCLE_1)
	s_or_b32 exec_lo, exec_lo, s0
                                        ; implicit-def: $vgpr11
                                        ; implicit-def: $vgpr4_vgpr5
.LBB36_29:                              ;   in Loop: Header=BB36_15 Depth=1
	s_and_not1_saveexec_b32 s0, s7
	s_cbranch_execz .LBB36_14
; %bb.30:                               ;   in Loop: Header=BB36_15 Depth=1
	v_cmp_eq_u64_e32 vcc_lo, 0, v[4:5]
	v_or_b32_e32 v1, 0x7f, v11
	s_delay_alu instid0(VALU_DEP_1)
	v_cndmask_b32_e32 v9, v1, v9, vcc_lo
	s_branch .LBB36_14
.LBB36_31:
	s_nop 0
	s_sendmsg sendmsg(MSG_DEALLOC_VGPRS)
	s_endpgm
	.section	.rodata,"a",@progbits
	.p2align	6, 0x0
	.amdhsa_kernel _ZN4vllm42fused_add_rms_norm_static_fp8_quant_kernelIfLi0EN3c1013Float8_e4m3fnEEENSt9enable_ifIXooeqT0_Li0Entsr12_typeConvertIT_EE6existsEvE4typeEPT1_PS4_iS9_PKS4_PKffii
		.amdhsa_group_segment_fixed_size 132
		.amdhsa_private_segment_fixed_size 0
		.amdhsa_kernarg_size 320
		.amdhsa_user_sgpr_count 15
		.amdhsa_user_sgpr_dispatch_ptr 0
		.amdhsa_user_sgpr_queue_ptr 0
		.amdhsa_user_sgpr_kernarg_segment_ptr 1
		.amdhsa_user_sgpr_dispatch_id 0
		.amdhsa_user_sgpr_private_segment_size 0
		.amdhsa_wavefront_size32 1
		.amdhsa_uses_dynamic_stack 0
		.amdhsa_enable_private_segment 0
		.amdhsa_system_sgpr_workgroup_id_x 1
		.amdhsa_system_sgpr_workgroup_id_y 0
		.amdhsa_system_sgpr_workgroup_id_z 0
		.amdhsa_system_sgpr_workgroup_info 0
		.amdhsa_system_vgpr_workitem_id 0
		.amdhsa_next_free_vgpr 18
		.amdhsa_next_free_sgpr 19
		.amdhsa_reserve_vcc 1
		.amdhsa_float_round_mode_32 0
		.amdhsa_float_round_mode_16_64 0
		.amdhsa_float_denorm_mode_32 3
		.amdhsa_float_denorm_mode_16_64 3
		.amdhsa_dx10_clamp 1
		.amdhsa_ieee_mode 1
		.amdhsa_fp16_overflow 0
		.amdhsa_workgroup_processor_mode 1
		.amdhsa_memory_ordered 1
		.amdhsa_forward_progress 0
		.amdhsa_shared_vgpr_count 0
		.amdhsa_exception_fp_ieee_invalid_op 0
		.amdhsa_exception_fp_denorm_src 0
		.amdhsa_exception_fp_ieee_div_zero 0
		.amdhsa_exception_fp_ieee_overflow 0
		.amdhsa_exception_fp_ieee_underflow 0
		.amdhsa_exception_fp_ieee_inexact 0
		.amdhsa_exception_int_div_zero 0
	.end_amdhsa_kernel
	.section	.text._ZN4vllm42fused_add_rms_norm_static_fp8_quant_kernelIfLi0EN3c1013Float8_e4m3fnEEENSt9enable_ifIXooeqT0_Li0Entsr12_typeConvertIT_EE6existsEvE4typeEPT1_PS4_iS9_PKS4_PKffii,"axG",@progbits,_ZN4vllm42fused_add_rms_norm_static_fp8_quant_kernelIfLi0EN3c1013Float8_e4m3fnEEENSt9enable_ifIXooeqT0_Li0Entsr12_typeConvertIT_EE6existsEvE4typeEPT1_PS4_iS9_PKS4_PKffii,comdat
.Lfunc_end36:
	.size	_ZN4vllm42fused_add_rms_norm_static_fp8_quant_kernelIfLi0EN3c1013Float8_e4m3fnEEENSt9enable_ifIXooeqT0_Li0Entsr12_typeConvertIT_EE6existsEvE4typeEPT1_PS4_iS9_PKS4_PKffii, .Lfunc_end36-_ZN4vllm42fused_add_rms_norm_static_fp8_quant_kernelIfLi0EN3c1013Float8_e4m3fnEEENSt9enable_ifIXooeqT0_Li0Entsr12_typeConvertIT_EE6existsEvE4typeEPT1_PS4_iS9_PKS4_PKffii
                                        ; -- End function
	.section	.AMDGPU.csdata,"",@progbits
; Kernel info:
; codeLenInByte = 1964
; NumSgprs: 21
; NumVgprs: 18
; ScratchSize: 0
; MemoryBound: 0
; FloatMode: 240
; IeeeMode: 1
; LDSByteSize: 132 bytes/workgroup (compile time only)
; SGPRBlocks: 2
; VGPRBlocks: 2
; NumSGPRsForWavesPerEU: 21
; NumVGPRsForWavesPerEU: 18
; Occupancy: 16
; WaveLimiterHint : 0
; COMPUTE_PGM_RSRC2:SCRATCH_EN: 0
; COMPUTE_PGM_RSRC2:USER_SGPR: 15
; COMPUTE_PGM_RSRC2:TRAP_HANDLER: 0
; COMPUTE_PGM_RSRC2:TGID_X_EN: 1
; COMPUTE_PGM_RSRC2:TGID_Y_EN: 0
; COMPUTE_PGM_RSRC2:TGID_Z_EN: 0
; COMPUTE_PGM_RSRC2:TIDIG_COMP_CNT: 0
	.section	.text._ZN4vllm42fused_add_rms_norm_static_fp8_quant_kernelIfLi0EN3c1015Float8_e4m3fnuzEEENSt9enable_ifIXooeqT0_Li0Entsr12_typeConvertIT_EE6existsEvE4typeEPT1_PS4_iS9_PKS4_PKffii,"axG",@progbits,_ZN4vllm42fused_add_rms_norm_static_fp8_quant_kernelIfLi0EN3c1015Float8_e4m3fnuzEEENSt9enable_ifIXooeqT0_Li0Entsr12_typeConvertIT_EE6existsEvE4typeEPT1_PS4_iS9_PKS4_PKffii,comdat
	.protected	_ZN4vllm42fused_add_rms_norm_static_fp8_quant_kernelIfLi0EN3c1015Float8_e4m3fnuzEEENSt9enable_ifIXooeqT0_Li0Entsr12_typeConvertIT_EE6existsEvE4typeEPT1_PS4_iS9_PKS4_PKffii ; -- Begin function _ZN4vllm42fused_add_rms_norm_static_fp8_quant_kernelIfLi0EN3c1015Float8_e4m3fnuzEEENSt9enable_ifIXooeqT0_Li0Entsr12_typeConvertIT_EE6existsEvE4typeEPT1_PS4_iS9_PKS4_PKffii
	.globl	_ZN4vllm42fused_add_rms_norm_static_fp8_quant_kernelIfLi0EN3c1015Float8_e4m3fnuzEEENSt9enable_ifIXooeqT0_Li0Entsr12_typeConvertIT_EE6existsEvE4typeEPT1_PS4_iS9_PKS4_PKffii
	.p2align	8
	.type	_ZN4vllm42fused_add_rms_norm_static_fp8_quant_kernelIfLi0EN3c1015Float8_e4m3fnuzEEENSt9enable_ifIXooeqT0_Li0Entsr12_typeConvertIT_EE6existsEvE4typeEPT1_PS4_iS9_PKS4_PKffii,@function
_ZN4vllm42fused_add_rms_norm_static_fp8_quant_kernelIfLi0EN3c1015Float8_e4m3fnuzEEENSt9enable_ifIXooeqT0_Li0Entsr12_typeConvertIT_EE6existsEvE4typeEPT1_PS4_iS9_PKS4_PKffii: ; @_ZN4vllm42fused_add_rms_norm_static_fp8_quant_kernelIfLi0EN3c1015Float8_e4m3fnuzEEENSt9enable_ifIXooeqT0_Li0Entsr12_typeConvertIT_EE6existsEvE4typeEPT1_PS4_iS9_PKS4_PKffii
; %bb.0:
	s_clause 0x1
	s_load_b32 s3, s[0:1], 0x38
	s_load_b64 s[8:9], s[0:1], 0x18
	s_mov_b32 s4, exec_lo
                                        ; implicit-def: $sgpr13
                                        ; implicit-def: $sgpr12
	s_waitcnt lgkmcnt(0)
	v_cmp_gt_i32_e64 s2, s3, v0
	v_cmpx_le_i32_e64 s3, v0
	s_xor_b32 s4, exec_lo, s4
	s_cbranch_execz .LBB37_2
; %bb.1:
	s_load_b32 s5, s[0:1], 0x4c
	s_mov_b32 s13, 0
	s_waitcnt lgkmcnt(0)
	s_and_b32 s12, s5, 0xffff
.LBB37_2:
	s_or_saveexec_b32 s16, s4
	s_clause 0x1
	s_load_b64 s[10:11], s[0:1], 0x0
	s_load_b128 s[4:7], s[0:1], 0x20
	v_dual_mov_b32 v3, s13 :: v_dual_mov_b32 v6, s12
	s_mul_i32 s14, s15, s3
	s_xor_b32 exec_lo, exec_lo, s16
	s_cbranch_execz .LBB37_6
; %bb.3:
	s_clause 0x2
	s_load_b32 s17, s[0:1], 0x10
	s_load_b32 s18, s[0:1], 0x4c
	s_load_b64 s[12:13], s[0:1], 0x8
	v_dual_mov_b32 v2, 0 :: v_dual_mov_b32 v3, 0
	v_mov_b32_e32 v4, v0
	s_waitcnt lgkmcnt(0)
	s_mul_i32 s17, s15, s17
	s_and_b32 s15, s18, 0xffff
	s_mov_b32 s18, 0
	.p2align	6
.LBB37_4:                               ; =>This Inner Loop Header: Depth=1
	v_add_nc_u32_e32 v1, s17, v4
	s_delay_alu instid0(VALU_DEP_1) | instskip(SKIP_1) | instid1(VALU_DEP_1)
	v_lshlrev_b64 v[5:6], 2, v[1:2]
	v_add_nc_u32_e32 v1, s14, v4
	v_lshlrev_b64 v[7:8], 2, v[1:2]
	s_delay_alu instid0(VALU_DEP_3) | instskip(NEXT) | instid1(VALU_DEP_4)
	v_add_co_u32 v5, vcc_lo, s12, v5
	v_add_co_ci_u32_e32 v6, vcc_lo, s13, v6, vcc_lo
	s_delay_alu instid0(VALU_DEP_3) | instskip(NEXT) | instid1(VALU_DEP_4)
	v_add_co_u32 v7, vcc_lo, s8, v7
	v_add_co_ci_u32_e32 v8, vcc_lo, s9, v8, vcc_lo
	global_load_b32 v1, v[5:6], off
	global_load_b32 v5, v[7:8], off
	s_waitcnt vmcnt(0)
	v_dual_add_f32 v1, v1, v5 :: v_dual_add_nc_u32 v4, s15, v4
	s_delay_alu instid0(VALU_DEP_1) | instskip(NEXT) | instid1(VALU_DEP_2)
	v_cmp_le_i32_e32 vcc_lo, s3, v4
	v_fmac_f32_e32 v3, v1, v1
	s_or_b32 s18, vcc_lo, s18
	global_store_b32 v[7:8], v1, off
	s_and_not1_b32 exec_lo, exec_lo, s18
	s_cbranch_execnz .LBB37_4
; %bb.5:
	s_or_b32 exec_lo, exec_lo, s18
	v_mov_b32_e32 v6, s15
.LBB37_6:
	s_or_b32 exec_lo, exec_lo, s16
	v_mbcnt_lo_u32_b32 v1, -1, 0
	v_and_b32_e32 v4, 0x3e0, v0
	s_mov_b32 s12, exec_lo
	s_delay_alu instid0(VALU_DEP_2) | instskip(NEXT) | instid1(VALU_DEP_2)
	v_cmp_ne_u32_e32 vcc_lo, 31, v1
	v_sub_nc_u32_e64 v13, v6, v4 clamp
	v_add_nc_u32_e32 v4, 1, v1
	v_add_co_ci_u32_e32 v2, vcc_lo, 0, v1, vcc_lo
	v_cmp_gt_u32_e32 vcc_lo, 30, v1
	s_delay_alu instid0(VALU_DEP_2)
	v_lshlrev_b32_e32 v2, 2, v2
	v_cndmask_b32_e64 v7, 0, 1, vcc_lo
	v_cmp_lt_u32_e32 vcc_lo, v4, v13
	ds_bpermute_b32 v5, v2, v3
	s_waitcnt lgkmcnt(0)
	v_dual_add_f32 v8, v3, v5 :: v_dual_lshlrev_b32 v7, 1, v7
	s_delay_alu instid0(VALU_DEP_1) | instskip(NEXT) | instid1(VALU_DEP_2)
	v_add_lshl_u32 v5, v7, v1, 2
	v_cndmask_b32_e32 v8, v3, v8, vcc_lo
	v_cmp_gt_u32_e32 vcc_lo, 28, v1
	v_cndmask_b32_e64 v3, 0, 1, vcc_lo
	s_delay_alu instid0(VALU_DEP_1) | instskip(SKIP_3) | instid1(VALU_DEP_1)
	v_lshlrev_b32_e32 v9, 2, v3
	ds_bpermute_b32 v7, v5, v8
	s_waitcnt lgkmcnt(0)
	v_dual_add_f32 v10, v8, v7 :: v_dual_add_nc_u32 v3, 2, v1
	v_cmp_lt_u32_e32 vcc_lo, v3, v13
	v_add_lshl_u32 v7, v9, v1, 2
	s_delay_alu instid0(VALU_DEP_3) | instskip(SKIP_2) | instid1(VALU_DEP_1)
	v_cndmask_b32_e32 v10, v8, v10, vcc_lo
	v_cmp_gt_u32_e32 vcc_lo, 24, v1
	v_cndmask_b32_e64 v8, 0, 1, vcc_lo
	v_lshlrev_b32_e32 v11, 3, v8
	ds_bpermute_b32 v9, v7, v10
	v_add_nc_u32_e32 v8, 4, v1
	s_delay_alu instid0(VALU_DEP_1) | instskip(SKIP_3) | instid1(VALU_DEP_2)
	v_cmp_lt_u32_e32 vcc_lo, v8, v13
	s_waitcnt lgkmcnt(0)
	v_add_f32_e32 v12, v10, v9
	v_add_lshl_u32 v9, v11, v1, 2
	v_cndmask_b32_e32 v12, v10, v12, vcc_lo
	v_cmp_gt_u32_e32 vcc_lo, 16, v1
	ds_bpermute_b32 v11, v9, v12
	v_cndmask_b32_e64 v10, 0, 1, vcc_lo
	s_delay_alu instid0(VALU_DEP_1) | instskip(SKIP_1) | instid1(VALU_DEP_1)
	v_lshlrev_b32_e32 v14, 4, v10
	v_add_nc_u32_e32 v10, 8, v1
	v_cmp_lt_u32_e32 vcc_lo, v10, v13
	s_waitcnt lgkmcnt(0)
	v_add_f32_e32 v15, v12, v11
	v_add_lshl_u32 v11, v14, v1, 2
	s_delay_alu instid0(VALU_DEP_2)
	v_cndmask_b32_e32 v14, v12, v15, vcc_lo
	v_add_nc_u32_e32 v12, 16, v1
	ds_bpermute_b32 v15, v11, v14
	v_cmp_lt_u32_e32 vcc_lo, v12, v13
	s_waitcnt lgkmcnt(0)
	v_add_f32_e32 v15, v14, v15
	s_delay_alu instid0(VALU_DEP_1)
	v_cndmask_b32_e32 v13, v14, v15, vcc_lo
	v_cmpx_eq_u32_e32 0, v1
	s_cbranch_execz .LBB37_8
; %bb.7:
	v_lshrrev_b32_e32 v14, 3, v0
	s_delay_alu instid0(VALU_DEP_1)
	v_and_b32_e32 v14, 0x7c, v14
	ds_store_b32 v14, v13
.LBB37_8:
	s_or_b32 exec_lo, exec_lo, s12
	s_delay_alu instid0(SALU_CYCLE_1)
	s_mov_b32 s12, exec_lo
	s_waitcnt lgkmcnt(0)
	s_waitcnt_vscnt null, 0x0
	s_barrier
	buffer_gl0_inv
	v_cmpx_gt_u32_e32 32, v0
	s_cbranch_execz .LBB37_10
; %bb.9:
	v_lshlrev_b32_e32 v1, 2, v1
	v_add_nc_u32_e32 v13, 31, v6
	ds_load_b32 v1, v1
	v_lshrrev_b32_e32 v13, 5, v13
	s_delay_alu instid0(VALU_DEP_1) | instskip(SKIP_4) | instid1(VALU_DEP_1)
	v_cmp_lt_u32_e32 vcc_lo, v4, v13
	s_waitcnt lgkmcnt(0)
	ds_bpermute_b32 v2, v2, v1
	s_waitcnt lgkmcnt(0)
	v_add_f32_e32 v2, v1, v2
	v_cndmask_b32_e32 v1, v1, v2, vcc_lo
	v_cmp_lt_u32_e32 vcc_lo, v3, v13
	ds_bpermute_b32 v2, v5, v1
	s_waitcnt lgkmcnt(0)
	v_add_f32_e32 v2, v1, v2
	s_delay_alu instid0(VALU_DEP_1) | instskip(SKIP_4) | instid1(VALU_DEP_1)
	v_cndmask_b32_e32 v1, v1, v2, vcc_lo
	v_cmp_lt_u32_e32 vcc_lo, v8, v13
	ds_bpermute_b32 v2, v7, v1
	s_waitcnt lgkmcnt(0)
	v_add_f32_e32 v2, v1, v2
	v_cndmask_b32_e32 v1, v1, v2, vcc_lo
	v_cmp_lt_u32_e32 vcc_lo, v10, v13
	ds_bpermute_b32 v2, v9, v1
	s_waitcnt lgkmcnt(0)
	v_add_f32_e32 v2, v1, v2
	s_delay_alu instid0(VALU_DEP_1) | instskip(SKIP_4) | instid1(VALU_DEP_1)
	v_cndmask_b32_e32 v1, v1, v2, vcc_lo
	v_cmp_lt_u32_e32 vcc_lo, v12, v13
	ds_bpermute_b32 v2, v11, v1
	s_waitcnt lgkmcnt(0)
	v_add_f32_e32 v2, v1, v2
	v_cndmask_b32_e32 v13, v1, v2, vcc_lo
.LBB37_10:
	s_or_b32 exec_lo, exec_lo, s12
	s_delay_alu instid0(SALU_CYCLE_1)
	s_mov_b32 s12, exec_lo
	v_cmpx_eq_u32_e32 0, v0
	s_cbranch_execz .LBB37_12
; %bb.11:
	v_cvt_f32_i32_e32 v1, s3
	s_load_b32 s0, s[0:1], 0x30
	s_delay_alu instid0(VALU_DEP_1) | instskip(SKIP_1) | instid1(VALU_DEP_2)
	v_div_scale_f32 v2, null, v1, v1, v13
	v_div_scale_f32 v5, vcc_lo, v13, v1, v13
	v_rcp_f32_e32 v3, v2
	s_waitcnt_depctr 0xfff
	v_fma_f32 v4, -v2, v3, 1.0
	s_delay_alu instid0(VALU_DEP_1) | instskip(NEXT) | instid1(VALU_DEP_1)
	v_fmac_f32_e32 v3, v4, v3
	v_mul_f32_e32 v4, v5, v3
	s_delay_alu instid0(VALU_DEP_1) | instskip(NEXT) | instid1(VALU_DEP_1)
	v_fma_f32 v7, -v2, v4, v5
	v_fmac_f32_e32 v4, v7, v3
	s_delay_alu instid0(VALU_DEP_1) | instskip(NEXT) | instid1(VALU_DEP_1)
	v_fma_f32 v2, -v2, v4, v5
	v_div_fmas_f32 v2, v2, v3, v4
	s_delay_alu instid0(VALU_DEP_1) | instskip(SKIP_1) | instid1(VALU_DEP_1)
	v_div_fixup_f32 v1, v2, v1, v13
	s_waitcnt lgkmcnt(0)
	v_add_f32_e32 v1, s0, v1
	s_delay_alu instid0(VALU_DEP_1) | instskip(SKIP_1) | instid1(VALU_DEP_2)
	v_mul_f32_e32 v2, 0x4b800000, v1
	v_cmp_gt_f32_e32 vcc_lo, 0x800000, v1
	v_cndmask_b32_e32 v1, v1, v2, vcc_lo
	s_delay_alu instid0(VALU_DEP_1) | instskip(SKIP_2) | instid1(VALU_DEP_1)
	v_rsq_f32_e32 v1, v1
	s_waitcnt_depctr 0xfff
	v_mul_f32_e32 v2, 0x45800000, v1
	v_dual_cndmask_b32 v1, v1, v2 :: v_dual_mov_b32 v2, 0
	ds_store_b32 v2, v1 offset:128
.LBB37_12:
	s_or_b32 exec_lo, exec_lo, s12
	s_waitcnt lgkmcnt(0)
	s_barrier
	buffer_gl0_inv
	s_and_saveexec_b32 s0, s2
	s_cbranch_execz .LBB37_25
; %bb.13:
	s_load_b32 s0, s[6:7], 0x0
	s_mov_b32 s2, 0
	s_mov_b32 s6, 0x43600000
	s_waitcnt lgkmcnt(0)
	v_div_scale_f32 v1, null, s0, s0, 1.0
	v_div_scale_f32 v4, vcc_lo, 1.0, s0, 1.0
	s_delay_alu instid0(VALU_DEP_2) | instskip(SKIP_2) | instid1(VALU_DEP_1)
	v_rcp_f32_e32 v2, v1
	s_waitcnt_depctr 0xfff
	v_fma_f32 v3, -v1, v2, 1.0
	v_dual_fmac_f32 v2, v3, v2 :: v_dual_mov_b32 v3, 0
	s_delay_alu instid0(VALU_DEP_1) | instskip(NEXT) | instid1(VALU_DEP_1)
	v_mul_f32_e32 v5, v4, v2
	v_fma_f32 v7, -v1, v5, v4
	s_delay_alu instid0(VALU_DEP_1) | instskip(SKIP_2) | instid1(VALU_DEP_1)
	v_fmac_f32_e32 v5, v7, v2
	ds_load_b32 v7, v3 offset:128
	v_fma_f32 v1, -v1, v5, v4
	v_div_fmas_f32 v1, v1, v2, v5
	s_delay_alu instid0(VALU_DEP_1)
	v_div_fixup_f32 v8, v1, s0, 1.0
	s_branch .LBB37_18
.LBB37_14:                              ;   in Loop: Header=BB37_18 Depth=1
	s_or_b32 exec_lo, exec_lo, s0
	s_delay_alu instid0(VALU_DEP_2) | instskip(NEXT) | instid1(VALU_DEP_2)
	v_lshrrev_b64 v[4:5], 20, v[4:5]
	v_cmp_gt_i32_e32 vcc_lo, 16, v9
	v_and_b32_e32 v1, 0x80, v1
	v_min_i32_e32 v10, 15, v9
	v_cmp_eq_u32_e64 s0, 0, v9
	v_dual_cndmask_b32 v4, 7, v4 :: v_dual_cndmask_b32 v5, 0, v5
	s_delay_alu instid0(VALU_DEP_3) | instskip(NEXT) | instid1(VALU_DEP_2)
	v_lshl_or_b32 v1, v10, 3, v1
	v_cmp_eq_u64_e32 vcc_lo, 0, v[4:5]
	s_delay_alu instid0(VALU_DEP_2)
	v_and_or_b32 v1, v4, 7, v1
	s_and_b32 s0, s0, vcc_lo
	s_delay_alu instid0(VALU_DEP_1) | instid1(SALU_CYCLE_1)
	v_cndmask_b32_e64 v4, v1, 0, s0
.LBB37_15:                              ;   in Loop: Header=BB37_18 Depth=1
	s_or_b32 exec_lo, exec_lo, s13
.LBB37_16:                              ;   in Loop: Header=BB37_18 Depth=1
	s_and_not1_saveexec_b32 s0, s12
	s_delay_alu instid0(SALU_CYCLE_1)
	s_or_b32 exec_lo, exec_lo, s0
.LBB37_17:                              ;   in Loop: Header=BB37_18 Depth=1
	s_and_not1_saveexec_b32 s0, s7
	s_delay_alu instid0(SALU_CYCLE_1) | instskip(SKIP_2) | instid1(VALU_DEP_1)
	s_or_b32 exec_lo, exec_lo, s0
	v_add_nc_u32_e32 v0, v0, v6
	v_add_co_u32 v1, s0, s10, v2
	v_add_co_ci_u32_e64 v2, null, s11, 0, s0
	s_delay_alu instid0(VALU_DEP_3) | instskip(SKIP_2) | instid1(SALU_CYCLE_1)
	v_cmp_le_i32_e32 vcc_lo, s3, v0
	global_store_b8 v[1:2], v4, off
	s_or_b32 s2, vcc_lo, s2
	s_and_not1_b32 exec_lo, exec_lo, s2
	s_cbranch_execz .LBB37_25
.LBB37_18:                              ; =>This Inner Loop Header: Depth=1
	v_add_nc_u32_e32 v2, s14, v0
	v_ashrrev_i32_e32 v1, 31, v0
	s_mov_b32 s0, exec_lo
	s_delay_alu instid0(VALU_DEP_2) | instskip(NEXT) | instid1(VALU_DEP_2)
	v_lshlrev_b64 v[4:5], 2, v[2:3]
	v_lshlrev_b64 v[9:10], 2, v[0:1]
	s_delay_alu instid0(VALU_DEP_2) | instskip(NEXT) | instid1(VALU_DEP_3)
	v_add_co_u32 v4, vcc_lo, s8, v4
	v_add_co_ci_u32_e32 v5, vcc_lo, s9, v5, vcc_lo
	s_delay_alu instid0(VALU_DEP_3) | instskip(NEXT) | instid1(VALU_DEP_4)
	v_add_co_u32 v9, vcc_lo, s4, v9
	v_add_co_ci_u32_e32 v10, vcc_lo, s5, v10, vcc_lo
	global_load_b32 v1, v[4:5], off
	global_load_b32 v4, v[9:10], off
	s_waitcnt vmcnt(1) lgkmcnt(0)
	v_dual_mov_b32 v10, v3 :: v_dual_mul_f32 v1, v1, v7
	s_waitcnt vmcnt(0)
	s_delay_alu instid0(VALU_DEP_1) | instskip(NEXT) | instid1(VALU_DEP_1)
	v_mul_f32_e32 v1, v1, v4
	v_mul_f32_e32 v1, v8, v1
	s_delay_alu instid0(VALU_DEP_1) | instskip(NEXT) | instid1(VALU_DEP_1)
	v_minmax_f32 v5, v1, s6, 0xc3600000
	v_lshrrev_b32_e32 v1, 24, v5
	v_and_b32_e32 v9, 0x7f800000, v5
	s_delay_alu instid0(VALU_DEP_2) | instskip(NEXT) | instid1(VALU_DEP_2)
	v_or_b32_e32 v4, 0x7f, v1
	v_cmpx_ne_u64_e32 0x7f800000, v[9:10]
	s_xor_b32 s7, exec_lo, s0
	s_cbranch_execz .LBB37_17
; %bb.19:                               ;   in Loop: Header=BB37_18 Depth=1
	v_dual_mov_b32 v10, v3 :: v_dual_and_b32 v9, 0x7fffffff, v5
	s_mov_b32 s0, exec_lo
	s_delay_alu instid0(VALU_DEP_1)
	v_cmpx_gt_u64_e32 0x43700001, v[9:10]
	s_xor_b32 s12, exec_lo, s0
	s_cbranch_execz .LBB37_16
; %bb.20:                               ;   in Loop: Header=BB37_18 Depth=1
	v_mov_b32_e32 v4, 0
	s_mov_b32 s13, exec_lo
	v_cmpx_ne_u32_e32 0, v5
	s_cbranch_execz .LBB37_15
; %bb.21:                               ;   in Loop: Header=BB37_18 Depth=1
	v_bfe_u32 v11, v5, 23, 8
	v_and_b32_e32 v9, 0x7fffff, v5
	v_mov_b32_e32 v5, v3
	s_delay_alu instid0(VALU_DEP_3) | instskip(SKIP_2) | instid1(VALU_DEP_3)
	v_sub_nc_u32_e64 v4, 0x78, v11 clamp
	v_cmp_eq_u32_e32 vcc_lo, 0, v11
	v_add_nc_u32_e32 v11, 0xffffff89, v11
	v_cndmask_b32_e64 v16, v4, 0x77, vcc_lo
	v_or_b32_e32 v4, 0x800000, v9
	s_delay_alu instid0(VALU_DEP_2) | instskip(NEXT) | instid1(VALU_DEP_2)
	v_add_nc_u32_e32 v10, 20, v16
	v_cndmask_b32_e32 v4, v4, v9, vcc_lo
	v_add_nc_u32_e32 v14, 19, v16
	s_delay_alu instid0(VALU_DEP_3) | instskip(NEXT) | instid1(VALU_DEP_3)
	v_lshlrev_b64 v[9:10], v10, -1
	v_lshrrev_b64 v[12:13], v16, v[4:5]
	s_delay_alu instid0(VALU_DEP_3) | instskip(SKIP_1) | instid1(VALU_DEP_4)
	v_lshlrev_b64 v[14:15], v14, 1
	v_mov_b32_e32 v10, v3
	v_not_b32_e32 v17, v9
	s_delay_alu instid0(VALU_DEP_4) | instskip(NEXT) | instid1(VALU_DEP_2)
	v_and_b32_e32 v9, 0x100000, v12
	v_and_b32_e32 v4, v4, v17
	s_delay_alu instid0(VALU_DEP_2) | instskip(NEXT) | instid1(VALU_DEP_2)
	v_cmp_eq_u64_e64 s0, 0, v[9:10]
	v_cmp_eq_u64_e64 s1, v[4:5], v[14:15]
	v_cndmask_b32_e64 v4, v11, 0xffffff8a, vcc_lo
	v_lshrrev_b32_e32 v5, 23, v12
	s_delay_alu instid0(VALU_DEP_3) | instskip(NEXT) | instid1(VALU_DEP_1)
	s_and_b32 vcc_lo, s0, s1
	v_add3_u32 v10, v4, v16, v5
	v_subrev_co_ci_u32_e32 v9, vcc_lo, 0, v12, vcc_lo
	s_mov_b32 s0, exec_lo
	s_delay_alu instid0(VALU_DEP_2) | instskip(NEXT) | instid1(VALU_DEP_2)
	v_add_nc_u32_e32 v11, -1, v10
	v_and_b32_e32 v4, 0xfffff, v9
                                        ; implicit-def: $vgpr9
	s_delay_alu instid0(VALU_DEP_1) | instskip(SKIP_1) | instid1(VALU_DEP_4)
	v_add_co_u32 v4, vcc_lo, v4, v12
	v_add_co_ci_u32_e32 v5, vcc_lo, 0, v13, vcc_lo
	v_cmpx_ne_u32_e32 0, v11
	s_xor_b32 s0, exec_lo, s0
; %bb.22:                               ;   in Loop: Header=BB37_18 Depth=1
	s_delay_alu instid0(VALU_DEP_3) | instskip(SKIP_1) | instid1(VALU_DEP_2)
	v_dual_mov_b32 v13, v3 :: v_dual_and_b32 v12, 0x1000000, v4
	v_bfe_u32 v9, v4, 24, 1
	v_cmp_eq_u64_e32 vcc_lo, 0, v[12:13]
	s_delay_alu instid0(VALU_DEP_2)
	v_lshrrev_b64 v[4:5], v9, v[4:5]
	v_cndmask_b32_e32 v9, v10, v11, vcc_lo
; %bb.23:                               ;   in Loop: Header=BB37_18 Depth=1
	s_and_not1_saveexec_b32 s0, s0
	s_cbranch_execz .LBB37_14
; %bb.24:                               ;   in Loop: Header=BB37_18 Depth=1
	s_delay_alu instid0(VALU_DEP_2)
	v_bfe_u32 v9, v4, 23, 1
	s_branch .LBB37_14
.LBB37_25:
	s_nop 0
	s_sendmsg sendmsg(MSG_DEALLOC_VGPRS)
	s_endpgm
	.section	.rodata,"a",@progbits
	.p2align	6, 0x0
	.amdhsa_kernel _ZN4vllm42fused_add_rms_norm_static_fp8_quant_kernelIfLi0EN3c1015Float8_e4m3fnuzEEENSt9enable_ifIXooeqT0_Li0Entsr12_typeConvertIT_EE6existsEvE4typeEPT1_PS4_iS9_PKS4_PKffii
		.amdhsa_group_segment_fixed_size 132
		.amdhsa_private_segment_fixed_size 0
		.amdhsa_kernarg_size 320
		.amdhsa_user_sgpr_count 15
		.amdhsa_user_sgpr_dispatch_ptr 0
		.amdhsa_user_sgpr_queue_ptr 0
		.amdhsa_user_sgpr_kernarg_segment_ptr 1
		.amdhsa_user_sgpr_dispatch_id 0
		.amdhsa_user_sgpr_private_segment_size 0
		.amdhsa_wavefront_size32 1
		.amdhsa_uses_dynamic_stack 0
		.amdhsa_enable_private_segment 0
		.amdhsa_system_sgpr_workgroup_id_x 1
		.amdhsa_system_sgpr_workgroup_id_y 0
		.amdhsa_system_sgpr_workgroup_id_z 0
		.amdhsa_system_sgpr_workgroup_info 0
		.amdhsa_system_vgpr_workitem_id 0
		.amdhsa_next_free_vgpr 18
		.amdhsa_next_free_sgpr 19
		.amdhsa_reserve_vcc 1
		.amdhsa_float_round_mode_32 0
		.amdhsa_float_round_mode_16_64 0
		.amdhsa_float_denorm_mode_32 3
		.amdhsa_float_denorm_mode_16_64 3
		.amdhsa_dx10_clamp 1
		.amdhsa_ieee_mode 1
		.amdhsa_fp16_overflow 0
		.amdhsa_workgroup_processor_mode 1
		.amdhsa_memory_ordered 1
		.amdhsa_forward_progress 0
		.amdhsa_shared_vgpr_count 0
		.amdhsa_exception_fp_ieee_invalid_op 0
		.amdhsa_exception_fp_denorm_src 0
		.amdhsa_exception_fp_ieee_div_zero 0
		.amdhsa_exception_fp_ieee_overflow 0
		.amdhsa_exception_fp_ieee_underflow 0
		.amdhsa_exception_fp_ieee_inexact 0
		.amdhsa_exception_int_div_zero 0
	.end_amdhsa_kernel
	.section	.text._ZN4vllm42fused_add_rms_norm_static_fp8_quant_kernelIfLi0EN3c1015Float8_e4m3fnuzEEENSt9enable_ifIXooeqT0_Li0Entsr12_typeConvertIT_EE6existsEvE4typeEPT1_PS4_iS9_PKS4_PKffii,"axG",@progbits,_ZN4vllm42fused_add_rms_norm_static_fp8_quant_kernelIfLi0EN3c1015Float8_e4m3fnuzEEENSt9enable_ifIXooeqT0_Li0Entsr12_typeConvertIT_EE6existsEvE4typeEPT1_PS4_iS9_PKS4_PKffii,comdat
.Lfunc_end37:
	.size	_ZN4vllm42fused_add_rms_norm_static_fp8_quant_kernelIfLi0EN3c1015Float8_e4m3fnuzEEENSt9enable_ifIXooeqT0_Li0Entsr12_typeConvertIT_EE6existsEvE4typeEPT1_PS4_iS9_PKS4_PKffii, .Lfunc_end37-_ZN4vllm42fused_add_rms_norm_static_fp8_quant_kernelIfLi0EN3c1015Float8_e4m3fnuzEEENSt9enable_ifIXooeqT0_Li0Entsr12_typeConvertIT_EE6existsEvE4typeEPT1_PS4_iS9_PKS4_PKffii
                                        ; -- End function
	.section	.AMDGPU.csdata,"",@progbits
; Kernel info:
; codeLenInByte = 1912
; NumSgprs: 21
; NumVgprs: 18
; ScratchSize: 0
; MemoryBound: 0
; FloatMode: 240
; IeeeMode: 1
; LDSByteSize: 132 bytes/workgroup (compile time only)
; SGPRBlocks: 2
; VGPRBlocks: 2
; NumSGPRsForWavesPerEU: 21
; NumVGPRsForWavesPerEU: 18
; Occupancy: 16
; WaveLimiterHint : 0
; COMPUTE_PGM_RSRC2:SCRATCH_EN: 0
; COMPUTE_PGM_RSRC2:USER_SGPR: 15
; COMPUTE_PGM_RSRC2:TRAP_HANDLER: 0
; COMPUTE_PGM_RSRC2:TGID_X_EN: 1
; COMPUTE_PGM_RSRC2:TGID_Y_EN: 0
; COMPUTE_PGM_RSRC2:TGID_Z_EN: 0
; COMPUTE_PGM_RSRC2:TIDIG_COMP_CNT: 0
	.section	.text._ZN4vllm42fused_add_rms_norm_static_fp8_quant_kernelIN3c104HalfELi0ENS1_13Float8_e4m3fnEEENSt9enable_ifIXooeqT0_Li0Entsr12_typeConvertIT_EE6existsEvE4typeEPT1_PS5_iSA_PKS5_PKffii,"axG",@progbits,_ZN4vllm42fused_add_rms_norm_static_fp8_quant_kernelIN3c104HalfELi0ENS1_13Float8_e4m3fnEEENSt9enable_ifIXooeqT0_Li0Entsr12_typeConvertIT_EE6existsEvE4typeEPT1_PS5_iSA_PKS5_PKffii,comdat
	.protected	_ZN4vllm42fused_add_rms_norm_static_fp8_quant_kernelIN3c104HalfELi0ENS1_13Float8_e4m3fnEEENSt9enable_ifIXooeqT0_Li0Entsr12_typeConvertIT_EE6existsEvE4typeEPT1_PS5_iSA_PKS5_PKffii ; -- Begin function _ZN4vllm42fused_add_rms_norm_static_fp8_quant_kernelIN3c104HalfELi0ENS1_13Float8_e4m3fnEEENSt9enable_ifIXooeqT0_Li0Entsr12_typeConvertIT_EE6existsEvE4typeEPT1_PS5_iSA_PKS5_PKffii
	.globl	_ZN4vllm42fused_add_rms_norm_static_fp8_quant_kernelIN3c104HalfELi0ENS1_13Float8_e4m3fnEEENSt9enable_ifIXooeqT0_Li0Entsr12_typeConvertIT_EE6existsEvE4typeEPT1_PS5_iSA_PKS5_PKffii
	.p2align	8
	.type	_ZN4vllm42fused_add_rms_norm_static_fp8_quant_kernelIN3c104HalfELi0ENS1_13Float8_e4m3fnEEENSt9enable_ifIXooeqT0_Li0Entsr12_typeConvertIT_EE6existsEvE4typeEPT1_PS5_iSA_PKS5_PKffii,@function
_ZN4vllm42fused_add_rms_norm_static_fp8_quant_kernelIN3c104HalfELi0ENS1_13Float8_e4m3fnEEENSt9enable_ifIXooeqT0_Li0Entsr12_typeConvertIT_EE6existsEvE4typeEPT1_PS5_iSA_PKS5_PKffii: ; @_ZN4vllm42fused_add_rms_norm_static_fp8_quant_kernelIN3c104HalfELi0ENS1_13Float8_e4m3fnEEENSt9enable_ifIXooeqT0_Li0Entsr12_typeConvertIT_EE6existsEvE4typeEPT1_PS5_iSA_PKS5_PKffii
; %bb.0:
	s_clause 0x1
	s_load_b32 s3, s[0:1], 0x38
	s_load_b64 s[8:9], s[0:1], 0x18
	s_mov_b32 s4, exec_lo
                                        ; implicit-def: $sgpr13
                                        ; implicit-def: $sgpr12
	s_waitcnt lgkmcnt(0)
	v_cmp_gt_i32_e64 s2, s3, v0
	v_cmpx_le_i32_e64 s3, v0
	s_xor_b32 s4, exec_lo, s4
	s_cbranch_execz .LBB38_2
; %bb.1:
	s_load_b32 s5, s[0:1], 0x4c
	s_mov_b32 s13, 0
	s_waitcnt lgkmcnt(0)
	s_and_b32 s12, s5, 0xffff
.LBB38_2:
	s_or_saveexec_b32 s16, s4
	s_clause 0x1
	s_load_b64 s[10:11], s[0:1], 0x0
	s_load_b128 s[4:7], s[0:1], 0x20
	v_dual_mov_b32 v3, s13 :: v_dual_mov_b32 v6, s12
	s_mul_i32 s14, s15, s3
	s_xor_b32 exec_lo, exec_lo, s16
	s_cbranch_execz .LBB38_6
; %bb.3:
	s_clause 0x2
	s_load_b32 s17, s[0:1], 0x10
	s_load_b32 s18, s[0:1], 0x4c
	s_load_b64 s[12:13], s[0:1], 0x8
	v_dual_mov_b32 v2, 0 :: v_dual_mov_b32 v3, 0
	v_mov_b32_e32 v4, v0
	s_waitcnt lgkmcnt(0)
	s_mul_i32 s17, s15, s17
	s_and_b32 s15, s18, 0xffff
	s_mov_b32 s18, 0
	.p2align	6
.LBB38_4:                               ; =>This Inner Loop Header: Depth=1
	v_add_nc_u32_e32 v1, s17, v4
	s_delay_alu instid0(VALU_DEP_1) | instskip(SKIP_2) | instid1(VALU_DEP_2)
	v_lshlrev_b64 v[5:6], 1, v[1:2]
	v_add_nc_u32_e32 v1, s14, v4
	v_add_nc_u32_e32 v4, s15, v4
	v_lshlrev_b64 v[7:8], 1, v[1:2]
	s_delay_alu instid0(VALU_DEP_4) | instskip(SKIP_1) | instid1(VALU_DEP_3)
	v_add_co_u32 v5, vcc_lo, s12, v5
	v_add_co_ci_u32_e32 v6, vcc_lo, s13, v6, vcc_lo
	v_add_co_u32 v7, vcc_lo, s8, v7
	s_delay_alu instid0(VALU_DEP_4)
	v_add_co_ci_u32_e32 v8, vcc_lo, s9, v8, vcc_lo
	v_cmp_le_i32_e32 vcc_lo, s3, v4
	global_load_u16 v1, v[5:6], off
	global_load_u16 v5, v[7:8], off
	s_or_b32 s18, vcc_lo, s18
	s_waitcnt vmcnt(0)
	v_add_f16_e32 v1, v1, v5
	s_delay_alu instid0(VALU_DEP_1)
	v_fma_mix_f32 v3, v1, v1, v3 op_sel_hi:[1,1,0]
	global_store_b16 v[7:8], v1, off
	s_and_not1_b32 exec_lo, exec_lo, s18
	s_cbranch_execnz .LBB38_4
; %bb.5:
	s_or_b32 exec_lo, exec_lo, s18
	v_mov_b32_e32 v6, s15
.LBB38_6:
	s_or_b32 exec_lo, exec_lo, s16
	v_mbcnt_lo_u32_b32 v1, -1, 0
	v_and_b32_e32 v4, 0x3e0, v0
	s_mov_b32 s12, exec_lo
	s_delay_alu instid0(VALU_DEP_2) | instskip(NEXT) | instid1(VALU_DEP_2)
	v_cmp_ne_u32_e32 vcc_lo, 31, v1
	v_sub_nc_u32_e64 v13, v6, v4 clamp
	v_add_nc_u32_e32 v4, 1, v1
	v_add_co_ci_u32_e32 v2, vcc_lo, 0, v1, vcc_lo
	v_cmp_gt_u32_e32 vcc_lo, 30, v1
	s_delay_alu instid0(VALU_DEP_2)
	v_lshlrev_b32_e32 v2, 2, v2
	v_cndmask_b32_e64 v7, 0, 1, vcc_lo
	v_cmp_lt_u32_e32 vcc_lo, v4, v13
	ds_bpermute_b32 v5, v2, v3
	s_waitcnt lgkmcnt(0)
	v_dual_add_f32 v8, v3, v5 :: v_dual_lshlrev_b32 v7, 1, v7
	s_delay_alu instid0(VALU_DEP_1) | instskip(NEXT) | instid1(VALU_DEP_2)
	v_add_lshl_u32 v5, v7, v1, 2
	v_cndmask_b32_e32 v8, v3, v8, vcc_lo
	v_cmp_gt_u32_e32 vcc_lo, 28, v1
	v_cndmask_b32_e64 v3, 0, 1, vcc_lo
	s_delay_alu instid0(VALU_DEP_1) | instskip(SKIP_3) | instid1(VALU_DEP_1)
	v_lshlrev_b32_e32 v9, 2, v3
	ds_bpermute_b32 v7, v5, v8
	s_waitcnt lgkmcnt(0)
	v_dual_add_f32 v10, v8, v7 :: v_dual_add_nc_u32 v3, 2, v1
	v_cmp_lt_u32_e32 vcc_lo, v3, v13
	v_add_lshl_u32 v7, v9, v1, 2
	s_delay_alu instid0(VALU_DEP_3) | instskip(SKIP_2) | instid1(VALU_DEP_1)
	v_cndmask_b32_e32 v10, v8, v10, vcc_lo
	v_cmp_gt_u32_e32 vcc_lo, 24, v1
	v_cndmask_b32_e64 v8, 0, 1, vcc_lo
	v_lshlrev_b32_e32 v11, 3, v8
	ds_bpermute_b32 v9, v7, v10
	v_add_nc_u32_e32 v8, 4, v1
	s_delay_alu instid0(VALU_DEP_1) | instskip(SKIP_3) | instid1(VALU_DEP_2)
	v_cmp_lt_u32_e32 vcc_lo, v8, v13
	s_waitcnt lgkmcnt(0)
	v_add_f32_e32 v12, v10, v9
	v_add_lshl_u32 v9, v11, v1, 2
	v_cndmask_b32_e32 v12, v10, v12, vcc_lo
	v_cmp_gt_u32_e32 vcc_lo, 16, v1
	ds_bpermute_b32 v11, v9, v12
	v_cndmask_b32_e64 v10, 0, 1, vcc_lo
	s_delay_alu instid0(VALU_DEP_1) | instskip(SKIP_1) | instid1(VALU_DEP_1)
	v_lshlrev_b32_e32 v14, 4, v10
	v_add_nc_u32_e32 v10, 8, v1
	v_cmp_lt_u32_e32 vcc_lo, v10, v13
	s_waitcnt lgkmcnt(0)
	v_add_f32_e32 v15, v12, v11
	v_add_lshl_u32 v11, v14, v1, 2
	s_delay_alu instid0(VALU_DEP_2)
	v_cndmask_b32_e32 v14, v12, v15, vcc_lo
	v_add_nc_u32_e32 v12, 16, v1
	ds_bpermute_b32 v15, v11, v14
	v_cmp_lt_u32_e32 vcc_lo, v12, v13
	s_waitcnt lgkmcnt(0)
	v_add_f32_e32 v15, v14, v15
	s_delay_alu instid0(VALU_DEP_1)
	v_cndmask_b32_e32 v13, v14, v15, vcc_lo
	v_cmpx_eq_u32_e32 0, v1
	s_cbranch_execz .LBB38_8
; %bb.7:
	v_lshrrev_b32_e32 v14, 3, v0
	s_delay_alu instid0(VALU_DEP_1)
	v_and_b32_e32 v14, 0x7c, v14
	ds_store_b32 v14, v13
.LBB38_8:
	s_or_b32 exec_lo, exec_lo, s12
	s_delay_alu instid0(SALU_CYCLE_1)
	s_mov_b32 s12, exec_lo
	s_waitcnt lgkmcnt(0)
	s_waitcnt_vscnt null, 0x0
	s_barrier
	buffer_gl0_inv
	v_cmpx_gt_u32_e32 32, v0
	s_cbranch_execz .LBB38_10
; %bb.9:
	v_lshlrev_b32_e32 v1, 2, v1
	v_add_nc_u32_e32 v13, 31, v6
	ds_load_b32 v1, v1
	v_lshrrev_b32_e32 v13, 5, v13
	s_delay_alu instid0(VALU_DEP_1) | instskip(SKIP_4) | instid1(VALU_DEP_1)
	v_cmp_lt_u32_e32 vcc_lo, v4, v13
	s_waitcnt lgkmcnt(0)
	ds_bpermute_b32 v2, v2, v1
	s_waitcnt lgkmcnt(0)
	v_add_f32_e32 v2, v1, v2
	v_cndmask_b32_e32 v1, v1, v2, vcc_lo
	v_cmp_lt_u32_e32 vcc_lo, v3, v13
	ds_bpermute_b32 v2, v5, v1
	s_waitcnt lgkmcnt(0)
	v_add_f32_e32 v2, v1, v2
	s_delay_alu instid0(VALU_DEP_1) | instskip(SKIP_4) | instid1(VALU_DEP_1)
	v_cndmask_b32_e32 v1, v1, v2, vcc_lo
	v_cmp_lt_u32_e32 vcc_lo, v8, v13
	ds_bpermute_b32 v2, v7, v1
	s_waitcnt lgkmcnt(0)
	v_add_f32_e32 v2, v1, v2
	v_cndmask_b32_e32 v1, v1, v2, vcc_lo
	v_cmp_lt_u32_e32 vcc_lo, v10, v13
	ds_bpermute_b32 v2, v9, v1
	s_waitcnt lgkmcnt(0)
	v_add_f32_e32 v2, v1, v2
	s_delay_alu instid0(VALU_DEP_1) | instskip(SKIP_4) | instid1(VALU_DEP_1)
	v_cndmask_b32_e32 v1, v1, v2, vcc_lo
	v_cmp_lt_u32_e32 vcc_lo, v12, v13
	ds_bpermute_b32 v2, v11, v1
	s_waitcnt lgkmcnt(0)
	v_add_f32_e32 v2, v1, v2
	v_cndmask_b32_e32 v13, v1, v2, vcc_lo
.LBB38_10:
	s_or_b32 exec_lo, exec_lo, s12
	s_delay_alu instid0(SALU_CYCLE_1)
	s_mov_b32 s12, exec_lo
	v_cmpx_eq_u32_e32 0, v0
	s_cbranch_execz .LBB38_12
; %bb.11:
	v_cvt_f32_i32_e32 v1, s3
	s_load_b32 s0, s[0:1], 0x30
	s_delay_alu instid0(VALU_DEP_1) | instskip(SKIP_1) | instid1(VALU_DEP_2)
	v_div_scale_f32 v2, null, v1, v1, v13
	v_div_scale_f32 v5, vcc_lo, v13, v1, v13
	v_rcp_f32_e32 v3, v2
	s_waitcnt_depctr 0xfff
	v_fma_f32 v4, -v2, v3, 1.0
	s_delay_alu instid0(VALU_DEP_1) | instskip(NEXT) | instid1(VALU_DEP_1)
	v_fmac_f32_e32 v3, v4, v3
	v_mul_f32_e32 v4, v5, v3
	s_delay_alu instid0(VALU_DEP_1) | instskip(NEXT) | instid1(VALU_DEP_1)
	v_fma_f32 v7, -v2, v4, v5
	v_fmac_f32_e32 v4, v7, v3
	s_delay_alu instid0(VALU_DEP_1) | instskip(NEXT) | instid1(VALU_DEP_1)
	v_fma_f32 v2, -v2, v4, v5
	v_div_fmas_f32 v2, v2, v3, v4
	s_delay_alu instid0(VALU_DEP_1) | instskip(SKIP_1) | instid1(VALU_DEP_1)
	v_div_fixup_f32 v1, v2, v1, v13
	s_waitcnt lgkmcnt(0)
	v_add_f32_e32 v1, s0, v1
	s_delay_alu instid0(VALU_DEP_1) | instskip(SKIP_1) | instid1(VALU_DEP_2)
	v_mul_f32_e32 v2, 0x4b800000, v1
	v_cmp_gt_f32_e32 vcc_lo, 0x800000, v1
	v_cndmask_b32_e32 v1, v1, v2, vcc_lo
	s_delay_alu instid0(VALU_DEP_1) | instskip(SKIP_2) | instid1(VALU_DEP_1)
	v_rsq_f32_e32 v1, v1
	s_waitcnt_depctr 0xfff
	v_mul_f32_e32 v2, 0x45800000, v1
	v_dual_cndmask_b32 v1, v1, v2 :: v_dual_mov_b32 v2, 0
	ds_store_b32 v2, v1 offset:128
.LBB38_12:
	s_or_b32 exec_lo, exec_lo, s12
	s_waitcnt lgkmcnt(0)
	s_barrier
	buffer_gl0_inv
	s_and_saveexec_b32 s0, s2
	s_cbranch_execz .LBB38_31
; %bb.13:
	s_load_b32 s0, s[6:7], 0x0
	s_mov_b32 s2, 0
	s_mov_b32 s6, 0x43e00000
	s_waitcnt lgkmcnt(0)
	v_div_scale_f32 v1, null, s0, s0, 1.0
	v_div_scale_f32 v4, vcc_lo, 1.0, s0, 1.0
	s_delay_alu instid0(VALU_DEP_2) | instskip(SKIP_2) | instid1(VALU_DEP_1)
	v_rcp_f32_e32 v2, v1
	s_waitcnt_depctr 0xfff
	v_fma_f32 v3, -v1, v2, 1.0
	v_dual_fmac_f32 v2, v3, v2 :: v_dual_mov_b32 v3, 0
	s_delay_alu instid0(VALU_DEP_1) | instskip(NEXT) | instid1(VALU_DEP_1)
	v_mul_f32_e32 v5, v4, v2
	v_fma_f32 v7, -v1, v5, v4
	s_delay_alu instid0(VALU_DEP_1) | instskip(SKIP_2) | instid1(VALU_DEP_1)
	v_fmac_f32_e32 v5, v7, v2
	ds_load_b32 v7, v3 offset:128
	v_fma_f32 v1, -v1, v5, v4
	v_div_fmas_f32 v1, v1, v2, v5
	s_delay_alu instid0(VALU_DEP_1)
	v_div_fixup_f32 v8, v1, s0, 1.0
	s_branch .LBB38_15
.LBB38_14:                              ;   in Loop: Header=BB38_15 Depth=1
	s_or_b32 exec_lo, exec_lo, s0
	v_add_nc_u32_e32 v0, v0, v6
	v_add_co_u32 v1, s0, s10, v2
	s_delay_alu instid0(VALU_DEP_1) | instskip(NEXT) | instid1(VALU_DEP_3)
	v_add_co_ci_u32_e64 v2, null, s11, 0, s0
	v_cmp_le_i32_e32 vcc_lo, s3, v0
	global_store_b8 v[1:2], v9, off
	s_or_b32 s2, vcc_lo, s2
	s_delay_alu instid0(SALU_CYCLE_1)
	s_and_not1_b32 exec_lo, exec_lo, s2
	s_cbranch_execz .LBB38_31
.LBB38_15:                              ; =>This Inner Loop Header: Depth=1
	v_add_nc_u32_e32 v2, s14, v0
	v_ashrrev_i32_e32 v1, 31, v0
	s_mov_b32 s0, exec_lo
	v_mov_b32_e32 v13, v3
	s_delay_alu instid0(VALU_DEP_3) | instskip(NEXT) | instid1(VALU_DEP_3)
	v_lshlrev_b64 v[4:5], 1, v[2:3]
	v_lshlrev_b64 v[9:10], 1, v[0:1]
	s_delay_alu instid0(VALU_DEP_2) | instskip(NEXT) | instid1(VALU_DEP_3)
	v_add_co_u32 v4, vcc_lo, s8, v4
	v_add_co_ci_u32_e32 v5, vcc_lo, s9, v5, vcc_lo
	global_load_u16 v1, v[4:5], off
	v_add_co_u32 v4, vcc_lo, s4, v9
	v_add_co_ci_u32_e32 v5, vcc_lo, s5, v10, vcc_lo
	global_load_u16 v4, v[4:5], off
	v_mov_b32_e32 v5, v3
	s_waitcnt vmcnt(1) lgkmcnt(0)
	v_fma_mixlo_f16 v1, v7, v1, 0 op_sel_hi:[0,1,0]
	s_waitcnt vmcnt(0)
	s_delay_alu instid0(VALU_DEP_1) | instskip(NEXT) | instid1(VALU_DEP_1)
	v_mul_f16_e32 v1, v4, v1
	v_cvt_f32_f16_e32 v1, v1
	s_delay_alu instid0(VALU_DEP_1) | instskip(NEXT) | instid1(VALU_DEP_1)
	v_mul_f32_e32 v1, v8, v1
	v_minmax_f32 v10, v1, s6, 0xc3e00000
	s_delay_alu instid0(VALU_DEP_1) | instskip(SKIP_2) | instid1(VALU_DEP_3)
	v_lshrrev_b32_e32 v11, 24, v10
	v_and_b32_e32 v12, 0x7f800000, v10
	v_and_b32_e32 v4, 0x7fffff, v10
	v_and_b32_e32 v1, 0x80, v11
	s_delay_alu instid0(VALU_DEP_1) | instskip(NEXT) | instid1(VALU_DEP_4)
	v_or_b32_e32 v9, 0x7e, v1
	v_cmpx_ne_u64_e32 0x7f800000, v[12:13]
	s_xor_b32 s7, exec_lo, s0
	s_cbranch_execz .LBB38_29
; %bb.16:                               ;   in Loop: Header=BB38_15 Depth=1
	v_dual_mov_b32 v12, v3 :: v_dual_and_b32 v11, 0x7fffffff, v10
	s_mov_b32 s0, exec_lo
	s_delay_alu instid0(VALU_DEP_1)
	v_cmpx_gt_u64_e32 0x43e00001, v[11:12]
	s_xor_b32 s12, exec_lo, s0
	s_cbranch_execz .LBB38_28
; %bb.17:                               ;   in Loop: Header=BB38_15 Depth=1
	v_mov_b32_e32 v9, 0
	s_mov_b32 s13, exec_lo
	v_cmpx_ne_u32_e32 0, v10
	s_cbranch_execz .LBB38_27
; %bb.18:                               ;   in Loop: Header=BB38_15 Depth=1
	v_bfe_u32 v11, v10, 23, 8
	s_delay_alu instid0(VALU_DEP_1) | instskip(SKIP_2) | instid1(VALU_DEP_3)
	v_sub_nc_u32_e64 v9, 0x79, v11 clamp
	v_cmp_eq_u32_e32 vcc_lo, 0, v11
	v_add_nc_u32_e32 v11, 0xffffff88, v11
	v_cndmask_b32_e64 v16, v9, 0x78, vcc_lo
	v_or_b32_e32 v9, 0x800000, v4
	s_delay_alu instid0(VALU_DEP_2) | instskip(NEXT) | instid1(VALU_DEP_2)
	v_add_nc_u32_e32 v10, 20, v16
	v_cndmask_b32_e32 v4, v9, v4, vcc_lo
	v_add_nc_u32_e32 v14, 19, v16
	s_delay_alu instid0(VALU_DEP_3) | instskip(NEXT) | instid1(VALU_DEP_3)
	v_lshlrev_b64 v[9:10], v10, -1
	v_lshrrev_b64 v[12:13], v16, v[4:5]
	s_delay_alu instid0(VALU_DEP_3) | instskip(NEXT) | instid1(VALU_DEP_3)
	v_lshlrev_b64 v[14:15], v14, 1
	v_not_b32_e32 v5, v10
	s_delay_alu instid0(VALU_DEP_4) | instskip(NEXT) | instid1(VALU_DEP_4)
	v_not_b32_e32 v17, v9
	v_dual_mov_b32 v10, v3 :: v_dual_and_b32 v9, 0x100000, v12
	s_delay_alu instid0(VALU_DEP_3) | instskip(NEXT) | instid1(VALU_DEP_3)
	v_and_b32_e32 v5, 0, v5
	v_and_b32_e32 v4, v4, v17
	s_delay_alu instid0(VALU_DEP_3) | instskip(NEXT) | instid1(VALU_DEP_2)
	v_cmp_eq_u64_e64 s0, 0, v[9:10]
	v_cmp_eq_u64_e64 s1, v[4:5], v[14:15]
	v_cndmask_b32_e64 v4, v11, 0xffffff89, vcc_lo
	v_lshrrev_b32_e32 v5, 23, v12
	s_delay_alu instid0(VALU_DEP_3) | instskip(NEXT) | instid1(VALU_DEP_1)
	s_and_b32 vcc_lo, s0, s1
	v_add3_u32 v9, v4, v16, v5
	v_subrev_co_ci_u32_e32 v10, vcc_lo, 0, v12, vcc_lo
	s_mov_b32 s0, exec_lo
	s_delay_alu instid0(VALU_DEP_2) | instskip(NEXT) | instid1(VALU_DEP_2)
	v_add_nc_u32_e32 v11, -1, v9
	v_and_b32_e32 v4, 0xfffff, v10
                                        ; implicit-def: $vgpr10
	s_delay_alu instid0(VALU_DEP_1) | instskip(SKIP_1) | instid1(VALU_DEP_4)
	v_add_co_u32 v4, vcc_lo, v4, v12
	v_add_co_ci_u32_e32 v5, vcc_lo, 0, v13, vcc_lo
	v_cmpx_ne_u32_e32 0, v11
	s_xor_b32 s0, exec_lo, s0
; %bb.19:                               ;   in Loop: Header=BB38_15 Depth=1
	s_delay_alu instid0(VALU_DEP_3) | instskip(SKIP_1) | instid1(VALU_DEP_2)
	v_dual_mov_b32 v13, v3 :: v_dual_and_b32 v12, 0x1000000, v4
	v_bfe_u32 v10, v4, 24, 1
	v_cmp_eq_u64_e32 vcc_lo, 0, v[12:13]
	s_delay_alu instid0(VALU_DEP_2)
	v_lshrrev_b64 v[4:5], v10, v[4:5]
	v_cndmask_b32_e32 v10, v9, v11, vcc_lo
; %bb.20:                               ;   in Loop: Header=BB38_15 Depth=1
	s_and_not1_saveexec_b32 s0, s0
; %bb.21:                               ;   in Loop: Header=BB38_15 Depth=1
	s_delay_alu instid0(VALU_DEP_2)
	v_bfe_u32 v10, v4, 23, 1
; %bb.22:                               ;   in Loop: Header=BB38_15 Depth=1
	s_or_b32 exec_lo, exec_lo, s0
	s_delay_alu instid0(VALU_DEP_3) | instskip(NEXT) | instid1(VALU_DEP_2)
	v_lshrrev_b64 v[4:5], 20, v[4:5]
	v_cmp_gt_i32_e32 vcc_lo, 16, v10
	v_cmp_ne_u32_e64 s0, 0, v10
                                        ; implicit-def: $vgpr9
	s_delay_alu instid0(VALU_DEP_3) | instskip(NEXT) | instid1(VALU_DEP_1)
	v_dual_cndmask_b32 v5, 0, v5 :: v_dual_cndmask_b32 v4, 7, v4
	v_cmp_ne_u64_e32 vcc_lo, 0, v[4:5]
	s_delay_alu instid0(VALU_DEP_3) | instskip(NEXT) | instid1(SALU_CYCLE_1)
	s_or_b32 s0, s0, vcc_lo
	s_and_saveexec_b32 s1, s0
	s_delay_alu instid0(SALU_CYCLE_1)
	s_xor_b32 s0, exec_lo, s1
; %bb.23:                               ;   in Loop: Header=BB38_15 Depth=1
	v_min_i32_e32 v5, 15, v10
	s_delay_alu instid0(VALU_DEP_1) | instskip(NEXT) | instid1(VALU_DEP_1)
	v_lshl_or_b32 v1, v5, 3, v1
	v_and_or_b32 v9, v4, 7, v1
                                        ; implicit-def: $vgpr1
; %bb.24:                               ;   in Loop: Header=BB38_15 Depth=1
	s_and_not1_saveexec_b32 s0, s0
; %bb.25:                               ;   in Loop: Header=BB38_15 Depth=1
	v_mov_b32_e32 v9, v1
; %bb.26:                               ;   in Loop: Header=BB38_15 Depth=1
	s_or_b32 exec_lo, exec_lo, s0
.LBB38_27:                              ;   in Loop: Header=BB38_15 Depth=1
	s_delay_alu instid0(SALU_CYCLE_1)
	s_or_b32 exec_lo, exec_lo, s13
.LBB38_28:                              ;   in Loop: Header=BB38_15 Depth=1
	s_and_not1_saveexec_b32 s0, s12
	s_delay_alu instid0(SALU_CYCLE_1)
	s_or_b32 exec_lo, exec_lo, s0
                                        ; implicit-def: $vgpr11
                                        ; implicit-def: $vgpr4_vgpr5
.LBB38_29:                              ;   in Loop: Header=BB38_15 Depth=1
	s_and_not1_saveexec_b32 s0, s7
	s_cbranch_execz .LBB38_14
; %bb.30:                               ;   in Loop: Header=BB38_15 Depth=1
	v_cmp_eq_u64_e32 vcc_lo, 0, v[4:5]
	v_or_b32_e32 v1, 0x7f, v11
	s_delay_alu instid0(VALU_DEP_1)
	v_cndmask_b32_e32 v9, v1, v9, vcc_lo
	s_branch .LBB38_14
.LBB38_31:
	s_nop 0
	s_sendmsg sendmsg(MSG_DEALLOC_VGPRS)
	s_endpgm
	.section	.rodata,"a",@progbits
	.p2align	6, 0x0
	.amdhsa_kernel _ZN4vllm42fused_add_rms_norm_static_fp8_quant_kernelIN3c104HalfELi0ENS1_13Float8_e4m3fnEEENSt9enable_ifIXooeqT0_Li0Entsr12_typeConvertIT_EE6existsEvE4typeEPT1_PS5_iSA_PKS5_PKffii
		.amdhsa_group_segment_fixed_size 132
		.amdhsa_private_segment_fixed_size 0
		.amdhsa_kernarg_size 320
		.amdhsa_user_sgpr_count 15
		.amdhsa_user_sgpr_dispatch_ptr 0
		.amdhsa_user_sgpr_queue_ptr 0
		.amdhsa_user_sgpr_kernarg_segment_ptr 1
		.amdhsa_user_sgpr_dispatch_id 0
		.amdhsa_user_sgpr_private_segment_size 0
		.amdhsa_wavefront_size32 1
		.amdhsa_uses_dynamic_stack 0
		.amdhsa_enable_private_segment 0
		.amdhsa_system_sgpr_workgroup_id_x 1
		.amdhsa_system_sgpr_workgroup_id_y 0
		.amdhsa_system_sgpr_workgroup_id_z 0
		.amdhsa_system_sgpr_workgroup_info 0
		.amdhsa_system_vgpr_workitem_id 0
		.amdhsa_next_free_vgpr 18
		.amdhsa_next_free_sgpr 19
		.amdhsa_reserve_vcc 1
		.amdhsa_float_round_mode_32 0
		.amdhsa_float_round_mode_16_64 0
		.amdhsa_float_denorm_mode_32 3
		.amdhsa_float_denorm_mode_16_64 3
		.amdhsa_dx10_clamp 1
		.amdhsa_ieee_mode 1
		.amdhsa_fp16_overflow 0
		.amdhsa_workgroup_processor_mode 1
		.amdhsa_memory_ordered 1
		.amdhsa_forward_progress 0
		.amdhsa_shared_vgpr_count 0
		.amdhsa_exception_fp_ieee_invalid_op 0
		.amdhsa_exception_fp_denorm_src 0
		.amdhsa_exception_fp_ieee_div_zero 0
		.amdhsa_exception_fp_ieee_overflow 0
		.amdhsa_exception_fp_ieee_underflow 0
		.amdhsa_exception_fp_ieee_inexact 0
		.amdhsa_exception_int_div_zero 0
	.end_amdhsa_kernel
	.section	.text._ZN4vllm42fused_add_rms_norm_static_fp8_quant_kernelIN3c104HalfELi0ENS1_13Float8_e4m3fnEEENSt9enable_ifIXooeqT0_Li0Entsr12_typeConvertIT_EE6existsEvE4typeEPT1_PS5_iSA_PKS5_PKffii,"axG",@progbits,_ZN4vllm42fused_add_rms_norm_static_fp8_quant_kernelIN3c104HalfELi0ENS1_13Float8_e4m3fnEEENSt9enable_ifIXooeqT0_Li0Entsr12_typeConvertIT_EE6existsEvE4typeEPT1_PS5_iSA_PKS5_PKffii,comdat
.Lfunc_end38:
	.size	_ZN4vllm42fused_add_rms_norm_static_fp8_quant_kernelIN3c104HalfELi0ENS1_13Float8_e4m3fnEEENSt9enable_ifIXooeqT0_Li0Entsr12_typeConvertIT_EE6existsEvE4typeEPT1_PS5_iSA_PKS5_PKffii, .Lfunc_end38-_ZN4vllm42fused_add_rms_norm_static_fp8_quant_kernelIN3c104HalfELi0ENS1_13Float8_e4m3fnEEENSt9enable_ifIXooeqT0_Li0Entsr12_typeConvertIT_EE6existsEvE4typeEPT1_PS5_iSA_PKS5_PKffii
                                        ; -- End function
	.section	.AMDGPU.csdata,"",@progbits
; Kernel info:
; codeLenInByte = 1976
; NumSgprs: 21
; NumVgprs: 18
; ScratchSize: 0
; MemoryBound: 0
; FloatMode: 240
; IeeeMode: 1
; LDSByteSize: 132 bytes/workgroup (compile time only)
; SGPRBlocks: 2
; VGPRBlocks: 2
; NumSGPRsForWavesPerEU: 21
; NumVGPRsForWavesPerEU: 18
; Occupancy: 16
; WaveLimiterHint : 0
; COMPUTE_PGM_RSRC2:SCRATCH_EN: 0
; COMPUTE_PGM_RSRC2:USER_SGPR: 15
; COMPUTE_PGM_RSRC2:TRAP_HANDLER: 0
; COMPUTE_PGM_RSRC2:TGID_X_EN: 1
; COMPUTE_PGM_RSRC2:TGID_Y_EN: 0
; COMPUTE_PGM_RSRC2:TGID_Z_EN: 0
; COMPUTE_PGM_RSRC2:TIDIG_COMP_CNT: 0
	.section	.text._ZN4vllm42fused_add_rms_norm_static_fp8_quant_kernelIN3c104HalfELi0ENS1_15Float8_e4m3fnuzEEENSt9enable_ifIXooeqT0_Li0Entsr12_typeConvertIT_EE6existsEvE4typeEPT1_PS5_iSA_PKS5_PKffii,"axG",@progbits,_ZN4vllm42fused_add_rms_norm_static_fp8_quant_kernelIN3c104HalfELi0ENS1_15Float8_e4m3fnuzEEENSt9enable_ifIXooeqT0_Li0Entsr12_typeConvertIT_EE6existsEvE4typeEPT1_PS5_iSA_PKS5_PKffii,comdat
	.protected	_ZN4vllm42fused_add_rms_norm_static_fp8_quant_kernelIN3c104HalfELi0ENS1_15Float8_e4m3fnuzEEENSt9enable_ifIXooeqT0_Li0Entsr12_typeConvertIT_EE6existsEvE4typeEPT1_PS5_iSA_PKS5_PKffii ; -- Begin function _ZN4vllm42fused_add_rms_norm_static_fp8_quant_kernelIN3c104HalfELi0ENS1_15Float8_e4m3fnuzEEENSt9enable_ifIXooeqT0_Li0Entsr12_typeConvertIT_EE6existsEvE4typeEPT1_PS5_iSA_PKS5_PKffii
	.globl	_ZN4vllm42fused_add_rms_norm_static_fp8_quant_kernelIN3c104HalfELi0ENS1_15Float8_e4m3fnuzEEENSt9enable_ifIXooeqT0_Li0Entsr12_typeConvertIT_EE6existsEvE4typeEPT1_PS5_iSA_PKS5_PKffii
	.p2align	8
	.type	_ZN4vllm42fused_add_rms_norm_static_fp8_quant_kernelIN3c104HalfELi0ENS1_15Float8_e4m3fnuzEEENSt9enable_ifIXooeqT0_Li0Entsr12_typeConvertIT_EE6existsEvE4typeEPT1_PS5_iSA_PKS5_PKffii,@function
_ZN4vllm42fused_add_rms_norm_static_fp8_quant_kernelIN3c104HalfELi0ENS1_15Float8_e4m3fnuzEEENSt9enable_ifIXooeqT0_Li0Entsr12_typeConvertIT_EE6existsEvE4typeEPT1_PS5_iSA_PKS5_PKffii: ; @_ZN4vllm42fused_add_rms_norm_static_fp8_quant_kernelIN3c104HalfELi0ENS1_15Float8_e4m3fnuzEEENSt9enable_ifIXooeqT0_Li0Entsr12_typeConvertIT_EE6existsEvE4typeEPT1_PS5_iSA_PKS5_PKffii
; %bb.0:
	s_clause 0x1
	s_load_b32 s3, s[0:1], 0x38
	s_load_b64 s[8:9], s[0:1], 0x18
	s_mov_b32 s4, exec_lo
                                        ; implicit-def: $sgpr13
                                        ; implicit-def: $sgpr12
	s_waitcnt lgkmcnt(0)
	v_cmp_gt_i32_e64 s2, s3, v0
	v_cmpx_le_i32_e64 s3, v0
	s_xor_b32 s4, exec_lo, s4
	s_cbranch_execz .LBB39_2
; %bb.1:
	s_load_b32 s5, s[0:1], 0x4c
	s_mov_b32 s13, 0
	s_waitcnt lgkmcnt(0)
	s_and_b32 s12, s5, 0xffff
.LBB39_2:
	s_or_saveexec_b32 s16, s4
	s_clause 0x1
	s_load_b64 s[10:11], s[0:1], 0x0
	s_load_b128 s[4:7], s[0:1], 0x20
	v_dual_mov_b32 v3, s13 :: v_dual_mov_b32 v6, s12
	s_mul_i32 s14, s15, s3
	s_xor_b32 exec_lo, exec_lo, s16
	s_cbranch_execz .LBB39_6
; %bb.3:
	s_clause 0x2
	s_load_b32 s17, s[0:1], 0x10
	s_load_b32 s18, s[0:1], 0x4c
	s_load_b64 s[12:13], s[0:1], 0x8
	v_dual_mov_b32 v2, 0 :: v_dual_mov_b32 v3, 0
	v_mov_b32_e32 v4, v0
	s_waitcnt lgkmcnt(0)
	s_mul_i32 s17, s15, s17
	s_and_b32 s15, s18, 0xffff
	s_mov_b32 s18, 0
	.p2align	6
.LBB39_4:                               ; =>This Inner Loop Header: Depth=1
	v_add_nc_u32_e32 v1, s17, v4
	s_delay_alu instid0(VALU_DEP_1) | instskip(SKIP_2) | instid1(VALU_DEP_2)
	v_lshlrev_b64 v[5:6], 1, v[1:2]
	v_add_nc_u32_e32 v1, s14, v4
	v_add_nc_u32_e32 v4, s15, v4
	v_lshlrev_b64 v[7:8], 1, v[1:2]
	s_delay_alu instid0(VALU_DEP_4) | instskip(SKIP_1) | instid1(VALU_DEP_3)
	v_add_co_u32 v5, vcc_lo, s12, v5
	v_add_co_ci_u32_e32 v6, vcc_lo, s13, v6, vcc_lo
	v_add_co_u32 v7, vcc_lo, s8, v7
	s_delay_alu instid0(VALU_DEP_4)
	v_add_co_ci_u32_e32 v8, vcc_lo, s9, v8, vcc_lo
	v_cmp_le_i32_e32 vcc_lo, s3, v4
	global_load_u16 v1, v[5:6], off
	global_load_u16 v5, v[7:8], off
	s_or_b32 s18, vcc_lo, s18
	s_waitcnt vmcnt(0)
	v_add_f16_e32 v1, v1, v5
	s_delay_alu instid0(VALU_DEP_1)
	v_fma_mix_f32 v3, v1, v1, v3 op_sel_hi:[1,1,0]
	global_store_b16 v[7:8], v1, off
	s_and_not1_b32 exec_lo, exec_lo, s18
	s_cbranch_execnz .LBB39_4
; %bb.5:
	s_or_b32 exec_lo, exec_lo, s18
	v_mov_b32_e32 v6, s15
.LBB39_6:
	s_or_b32 exec_lo, exec_lo, s16
	v_mbcnt_lo_u32_b32 v1, -1, 0
	v_and_b32_e32 v4, 0x3e0, v0
	s_mov_b32 s12, exec_lo
	s_delay_alu instid0(VALU_DEP_2) | instskip(NEXT) | instid1(VALU_DEP_2)
	v_cmp_ne_u32_e32 vcc_lo, 31, v1
	v_sub_nc_u32_e64 v13, v6, v4 clamp
	v_add_nc_u32_e32 v4, 1, v1
	v_add_co_ci_u32_e32 v2, vcc_lo, 0, v1, vcc_lo
	v_cmp_gt_u32_e32 vcc_lo, 30, v1
	s_delay_alu instid0(VALU_DEP_2)
	v_lshlrev_b32_e32 v2, 2, v2
	v_cndmask_b32_e64 v7, 0, 1, vcc_lo
	v_cmp_lt_u32_e32 vcc_lo, v4, v13
	ds_bpermute_b32 v5, v2, v3
	s_waitcnt lgkmcnt(0)
	v_dual_add_f32 v8, v3, v5 :: v_dual_lshlrev_b32 v7, 1, v7
	s_delay_alu instid0(VALU_DEP_1) | instskip(NEXT) | instid1(VALU_DEP_2)
	v_add_lshl_u32 v5, v7, v1, 2
	v_cndmask_b32_e32 v8, v3, v8, vcc_lo
	v_cmp_gt_u32_e32 vcc_lo, 28, v1
	v_cndmask_b32_e64 v3, 0, 1, vcc_lo
	s_delay_alu instid0(VALU_DEP_1) | instskip(SKIP_3) | instid1(VALU_DEP_1)
	v_lshlrev_b32_e32 v9, 2, v3
	ds_bpermute_b32 v7, v5, v8
	s_waitcnt lgkmcnt(0)
	v_dual_add_f32 v10, v8, v7 :: v_dual_add_nc_u32 v3, 2, v1
	v_cmp_lt_u32_e32 vcc_lo, v3, v13
	v_add_lshl_u32 v7, v9, v1, 2
	s_delay_alu instid0(VALU_DEP_3) | instskip(SKIP_2) | instid1(VALU_DEP_1)
	v_cndmask_b32_e32 v10, v8, v10, vcc_lo
	v_cmp_gt_u32_e32 vcc_lo, 24, v1
	v_cndmask_b32_e64 v8, 0, 1, vcc_lo
	v_lshlrev_b32_e32 v11, 3, v8
	ds_bpermute_b32 v9, v7, v10
	v_add_nc_u32_e32 v8, 4, v1
	s_delay_alu instid0(VALU_DEP_1) | instskip(SKIP_3) | instid1(VALU_DEP_2)
	v_cmp_lt_u32_e32 vcc_lo, v8, v13
	s_waitcnt lgkmcnt(0)
	v_add_f32_e32 v12, v10, v9
	v_add_lshl_u32 v9, v11, v1, 2
	v_cndmask_b32_e32 v12, v10, v12, vcc_lo
	v_cmp_gt_u32_e32 vcc_lo, 16, v1
	ds_bpermute_b32 v11, v9, v12
	v_cndmask_b32_e64 v10, 0, 1, vcc_lo
	s_delay_alu instid0(VALU_DEP_1) | instskip(SKIP_1) | instid1(VALU_DEP_1)
	v_lshlrev_b32_e32 v14, 4, v10
	v_add_nc_u32_e32 v10, 8, v1
	v_cmp_lt_u32_e32 vcc_lo, v10, v13
	s_waitcnt lgkmcnt(0)
	v_add_f32_e32 v15, v12, v11
	v_add_lshl_u32 v11, v14, v1, 2
	s_delay_alu instid0(VALU_DEP_2)
	v_cndmask_b32_e32 v14, v12, v15, vcc_lo
	v_add_nc_u32_e32 v12, 16, v1
	ds_bpermute_b32 v15, v11, v14
	v_cmp_lt_u32_e32 vcc_lo, v12, v13
	s_waitcnt lgkmcnt(0)
	v_add_f32_e32 v15, v14, v15
	s_delay_alu instid0(VALU_DEP_1)
	v_cndmask_b32_e32 v13, v14, v15, vcc_lo
	v_cmpx_eq_u32_e32 0, v1
	s_cbranch_execz .LBB39_8
; %bb.7:
	v_lshrrev_b32_e32 v14, 3, v0
	s_delay_alu instid0(VALU_DEP_1)
	v_and_b32_e32 v14, 0x7c, v14
	ds_store_b32 v14, v13
.LBB39_8:
	s_or_b32 exec_lo, exec_lo, s12
	s_delay_alu instid0(SALU_CYCLE_1)
	s_mov_b32 s12, exec_lo
	s_waitcnt lgkmcnt(0)
	s_waitcnt_vscnt null, 0x0
	s_barrier
	buffer_gl0_inv
	v_cmpx_gt_u32_e32 32, v0
	s_cbranch_execz .LBB39_10
; %bb.9:
	v_lshlrev_b32_e32 v1, 2, v1
	v_add_nc_u32_e32 v13, 31, v6
	ds_load_b32 v1, v1
	v_lshrrev_b32_e32 v13, 5, v13
	s_delay_alu instid0(VALU_DEP_1) | instskip(SKIP_4) | instid1(VALU_DEP_1)
	v_cmp_lt_u32_e32 vcc_lo, v4, v13
	s_waitcnt lgkmcnt(0)
	ds_bpermute_b32 v2, v2, v1
	s_waitcnt lgkmcnt(0)
	v_add_f32_e32 v2, v1, v2
	v_cndmask_b32_e32 v1, v1, v2, vcc_lo
	v_cmp_lt_u32_e32 vcc_lo, v3, v13
	ds_bpermute_b32 v2, v5, v1
	s_waitcnt lgkmcnt(0)
	v_add_f32_e32 v2, v1, v2
	s_delay_alu instid0(VALU_DEP_1) | instskip(SKIP_4) | instid1(VALU_DEP_1)
	v_cndmask_b32_e32 v1, v1, v2, vcc_lo
	v_cmp_lt_u32_e32 vcc_lo, v8, v13
	ds_bpermute_b32 v2, v7, v1
	s_waitcnt lgkmcnt(0)
	v_add_f32_e32 v2, v1, v2
	v_cndmask_b32_e32 v1, v1, v2, vcc_lo
	v_cmp_lt_u32_e32 vcc_lo, v10, v13
	ds_bpermute_b32 v2, v9, v1
	s_waitcnt lgkmcnt(0)
	v_add_f32_e32 v2, v1, v2
	s_delay_alu instid0(VALU_DEP_1) | instskip(SKIP_4) | instid1(VALU_DEP_1)
	v_cndmask_b32_e32 v1, v1, v2, vcc_lo
	v_cmp_lt_u32_e32 vcc_lo, v12, v13
	ds_bpermute_b32 v2, v11, v1
	s_waitcnt lgkmcnt(0)
	v_add_f32_e32 v2, v1, v2
	v_cndmask_b32_e32 v13, v1, v2, vcc_lo
.LBB39_10:
	s_or_b32 exec_lo, exec_lo, s12
	s_delay_alu instid0(SALU_CYCLE_1)
	s_mov_b32 s12, exec_lo
	v_cmpx_eq_u32_e32 0, v0
	s_cbranch_execz .LBB39_12
; %bb.11:
	v_cvt_f32_i32_e32 v1, s3
	s_load_b32 s0, s[0:1], 0x30
	s_delay_alu instid0(VALU_DEP_1) | instskip(SKIP_1) | instid1(VALU_DEP_2)
	v_div_scale_f32 v2, null, v1, v1, v13
	v_div_scale_f32 v5, vcc_lo, v13, v1, v13
	v_rcp_f32_e32 v3, v2
	s_waitcnt_depctr 0xfff
	v_fma_f32 v4, -v2, v3, 1.0
	s_delay_alu instid0(VALU_DEP_1) | instskip(NEXT) | instid1(VALU_DEP_1)
	v_fmac_f32_e32 v3, v4, v3
	v_mul_f32_e32 v4, v5, v3
	s_delay_alu instid0(VALU_DEP_1) | instskip(NEXT) | instid1(VALU_DEP_1)
	v_fma_f32 v7, -v2, v4, v5
	v_fmac_f32_e32 v4, v7, v3
	s_delay_alu instid0(VALU_DEP_1) | instskip(NEXT) | instid1(VALU_DEP_1)
	v_fma_f32 v2, -v2, v4, v5
	v_div_fmas_f32 v2, v2, v3, v4
	s_delay_alu instid0(VALU_DEP_1) | instskip(SKIP_1) | instid1(VALU_DEP_1)
	v_div_fixup_f32 v1, v2, v1, v13
	s_waitcnt lgkmcnt(0)
	v_add_f32_e32 v1, s0, v1
	s_delay_alu instid0(VALU_DEP_1) | instskip(SKIP_1) | instid1(VALU_DEP_2)
	v_mul_f32_e32 v2, 0x4b800000, v1
	v_cmp_gt_f32_e32 vcc_lo, 0x800000, v1
	v_cndmask_b32_e32 v1, v1, v2, vcc_lo
	s_delay_alu instid0(VALU_DEP_1) | instskip(SKIP_2) | instid1(VALU_DEP_1)
	v_rsq_f32_e32 v1, v1
	s_waitcnt_depctr 0xfff
	v_mul_f32_e32 v2, 0x45800000, v1
	v_dual_cndmask_b32 v1, v1, v2 :: v_dual_mov_b32 v2, 0
	ds_store_b32 v2, v1 offset:128
.LBB39_12:
	s_or_b32 exec_lo, exec_lo, s12
	s_waitcnt lgkmcnt(0)
	s_barrier
	buffer_gl0_inv
	s_and_saveexec_b32 s0, s2
	s_cbranch_execz .LBB39_25
; %bb.13:
	s_load_b32 s0, s[6:7], 0x0
	s_mov_b32 s2, 0
	s_mov_b32 s6, 0x43600000
	s_waitcnt lgkmcnt(0)
	v_div_scale_f32 v1, null, s0, s0, 1.0
	v_div_scale_f32 v4, vcc_lo, 1.0, s0, 1.0
	s_delay_alu instid0(VALU_DEP_2) | instskip(SKIP_2) | instid1(VALU_DEP_1)
	v_rcp_f32_e32 v2, v1
	s_waitcnt_depctr 0xfff
	v_fma_f32 v3, -v1, v2, 1.0
	v_dual_fmac_f32 v2, v3, v2 :: v_dual_mov_b32 v3, 0
	s_delay_alu instid0(VALU_DEP_1) | instskip(NEXT) | instid1(VALU_DEP_1)
	v_mul_f32_e32 v5, v4, v2
	v_fma_f32 v7, -v1, v5, v4
	s_delay_alu instid0(VALU_DEP_1) | instskip(SKIP_2) | instid1(VALU_DEP_1)
	v_fmac_f32_e32 v5, v7, v2
	ds_load_b32 v7, v3 offset:128
	v_fma_f32 v1, -v1, v5, v4
	v_div_fmas_f32 v1, v1, v2, v5
	s_delay_alu instid0(VALU_DEP_1)
	v_div_fixup_f32 v8, v1, s0, 1.0
	s_branch .LBB39_18
.LBB39_14:                              ;   in Loop: Header=BB39_18 Depth=1
	s_or_b32 exec_lo, exec_lo, s0
	s_delay_alu instid0(VALU_DEP_2) | instskip(NEXT) | instid1(VALU_DEP_2)
	v_lshrrev_b64 v[4:5], 20, v[4:5]
	v_cmp_gt_i32_e32 vcc_lo, 16, v9
	v_and_b32_e32 v1, 0x80, v1
	v_min_i32_e32 v10, 15, v9
	v_cmp_eq_u32_e64 s0, 0, v9
	v_dual_cndmask_b32 v4, 7, v4 :: v_dual_cndmask_b32 v5, 0, v5
	s_delay_alu instid0(VALU_DEP_3) | instskip(NEXT) | instid1(VALU_DEP_2)
	v_lshl_or_b32 v1, v10, 3, v1
	v_cmp_eq_u64_e32 vcc_lo, 0, v[4:5]
	s_delay_alu instid0(VALU_DEP_2)
	v_and_or_b32 v1, v4, 7, v1
	s_and_b32 s0, s0, vcc_lo
	s_delay_alu instid0(VALU_DEP_1) | instid1(SALU_CYCLE_1)
	v_cndmask_b32_e64 v4, v1, 0, s0
.LBB39_15:                              ;   in Loop: Header=BB39_18 Depth=1
	s_or_b32 exec_lo, exec_lo, s13
.LBB39_16:                              ;   in Loop: Header=BB39_18 Depth=1
	s_and_not1_saveexec_b32 s0, s12
	s_delay_alu instid0(SALU_CYCLE_1)
	s_or_b32 exec_lo, exec_lo, s0
.LBB39_17:                              ;   in Loop: Header=BB39_18 Depth=1
	s_and_not1_saveexec_b32 s0, s7
	s_delay_alu instid0(SALU_CYCLE_1) | instskip(SKIP_2) | instid1(VALU_DEP_1)
	s_or_b32 exec_lo, exec_lo, s0
	v_add_nc_u32_e32 v0, v0, v6
	v_add_co_u32 v1, s0, s10, v2
	v_add_co_ci_u32_e64 v2, null, s11, 0, s0
	s_delay_alu instid0(VALU_DEP_3) | instskip(SKIP_2) | instid1(SALU_CYCLE_1)
	v_cmp_le_i32_e32 vcc_lo, s3, v0
	global_store_b8 v[1:2], v4, off
	s_or_b32 s2, vcc_lo, s2
	s_and_not1_b32 exec_lo, exec_lo, s2
	s_cbranch_execz .LBB39_25
.LBB39_18:                              ; =>This Inner Loop Header: Depth=1
	v_add_nc_u32_e32 v2, s14, v0
	v_ashrrev_i32_e32 v1, 31, v0
	s_mov_b32 s0, exec_lo
	s_delay_alu instid0(VALU_DEP_2) | instskip(NEXT) | instid1(VALU_DEP_2)
	v_lshlrev_b64 v[4:5], 1, v[2:3]
	v_lshlrev_b64 v[9:10], 1, v[0:1]
	s_delay_alu instid0(VALU_DEP_2) | instskip(NEXT) | instid1(VALU_DEP_3)
	v_add_co_u32 v4, vcc_lo, s8, v4
	v_add_co_ci_u32_e32 v5, vcc_lo, s9, v5, vcc_lo
	s_delay_alu instid0(VALU_DEP_3) | instskip(NEXT) | instid1(VALU_DEP_4)
	v_add_co_u32 v9, vcc_lo, s4, v9
	v_add_co_ci_u32_e32 v10, vcc_lo, s5, v10, vcc_lo
	global_load_u16 v1, v[4:5], off
	global_load_u16 v4, v[9:10], off
	v_mov_b32_e32 v10, v3
	s_waitcnt vmcnt(1) lgkmcnt(0)
	v_fma_mixlo_f16 v1, v7, v1, 0 op_sel_hi:[0,1,0]
	s_waitcnt vmcnt(0)
	s_delay_alu instid0(VALU_DEP_1) | instskip(NEXT) | instid1(VALU_DEP_1)
	v_mul_f16_e32 v1, v4, v1
	v_cvt_f32_f16_e32 v1, v1
	s_delay_alu instid0(VALU_DEP_1) | instskip(NEXT) | instid1(VALU_DEP_1)
	v_mul_f32_e32 v1, v8, v1
	v_minmax_f32 v5, v1, s6, 0xc3600000
	s_delay_alu instid0(VALU_DEP_1) | instskip(SKIP_1) | instid1(VALU_DEP_2)
	v_lshrrev_b32_e32 v1, 24, v5
	v_and_b32_e32 v9, 0x7f800000, v5
	v_or_b32_e32 v4, 0x7f, v1
	s_delay_alu instid0(VALU_DEP_2)
	v_cmpx_ne_u64_e32 0x7f800000, v[9:10]
	s_xor_b32 s7, exec_lo, s0
	s_cbranch_execz .LBB39_17
; %bb.19:                               ;   in Loop: Header=BB39_18 Depth=1
	v_dual_mov_b32 v10, v3 :: v_dual_and_b32 v9, 0x7fffffff, v5
	s_mov_b32 s0, exec_lo
	s_delay_alu instid0(VALU_DEP_1)
	v_cmpx_gt_u64_e32 0x43700001, v[9:10]
	s_xor_b32 s12, exec_lo, s0
	s_cbranch_execz .LBB39_16
; %bb.20:                               ;   in Loop: Header=BB39_18 Depth=1
	v_mov_b32_e32 v4, 0
	s_mov_b32 s13, exec_lo
	v_cmpx_ne_u32_e32 0, v5
	s_cbranch_execz .LBB39_15
; %bb.21:                               ;   in Loop: Header=BB39_18 Depth=1
	v_bfe_u32 v11, v5, 23, 8
	v_and_b32_e32 v9, 0x7fffff, v5
	v_mov_b32_e32 v5, v3
	s_delay_alu instid0(VALU_DEP_3) | instskip(SKIP_2) | instid1(VALU_DEP_3)
	v_sub_nc_u32_e64 v4, 0x78, v11 clamp
	v_cmp_eq_u32_e32 vcc_lo, 0, v11
	v_add_nc_u32_e32 v11, 0xffffff89, v11
	v_cndmask_b32_e64 v16, v4, 0x77, vcc_lo
	v_or_b32_e32 v4, 0x800000, v9
	s_delay_alu instid0(VALU_DEP_2) | instskip(NEXT) | instid1(VALU_DEP_2)
	v_add_nc_u32_e32 v10, 20, v16
	v_cndmask_b32_e32 v4, v4, v9, vcc_lo
	v_add_nc_u32_e32 v14, 19, v16
	s_delay_alu instid0(VALU_DEP_3) | instskip(NEXT) | instid1(VALU_DEP_3)
	v_lshlrev_b64 v[9:10], v10, -1
	v_lshrrev_b64 v[12:13], v16, v[4:5]
	s_delay_alu instid0(VALU_DEP_3) | instskip(SKIP_1) | instid1(VALU_DEP_4)
	v_lshlrev_b64 v[14:15], v14, 1
	v_mov_b32_e32 v10, v3
	v_not_b32_e32 v17, v9
	s_delay_alu instid0(VALU_DEP_4) | instskip(NEXT) | instid1(VALU_DEP_2)
	v_and_b32_e32 v9, 0x100000, v12
	v_and_b32_e32 v4, v4, v17
	s_delay_alu instid0(VALU_DEP_2) | instskip(NEXT) | instid1(VALU_DEP_2)
	v_cmp_eq_u64_e64 s0, 0, v[9:10]
	v_cmp_eq_u64_e64 s1, v[4:5], v[14:15]
	v_cndmask_b32_e64 v4, v11, 0xffffff8a, vcc_lo
	v_lshrrev_b32_e32 v5, 23, v12
	s_delay_alu instid0(VALU_DEP_3) | instskip(NEXT) | instid1(VALU_DEP_1)
	s_and_b32 vcc_lo, s0, s1
	v_add3_u32 v10, v4, v16, v5
	v_subrev_co_ci_u32_e32 v9, vcc_lo, 0, v12, vcc_lo
	s_mov_b32 s0, exec_lo
	s_delay_alu instid0(VALU_DEP_2) | instskip(NEXT) | instid1(VALU_DEP_2)
	v_add_nc_u32_e32 v11, -1, v10
	v_and_b32_e32 v4, 0xfffff, v9
                                        ; implicit-def: $vgpr9
	s_delay_alu instid0(VALU_DEP_1) | instskip(SKIP_1) | instid1(VALU_DEP_4)
	v_add_co_u32 v4, vcc_lo, v4, v12
	v_add_co_ci_u32_e32 v5, vcc_lo, 0, v13, vcc_lo
	v_cmpx_ne_u32_e32 0, v11
	s_xor_b32 s0, exec_lo, s0
; %bb.22:                               ;   in Loop: Header=BB39_18 Depth=1
	s_delay_alu instid0(VALU_DEP_3) | instskip(SKIP_1) | instid1(VALU_DEP_2)
	v_dual_mov_b32 v13, v3 :: v_dual_and_b32 v12, 0x1000000, v4
	v_bfe_u32 v9, v4, 24, 1
	v_cmp_eq_u64_e32 vcc_lo, 0, v[12:13]
	s_delay_alu instid0(VALU_DEP_2)
	v_lshrrev_b64 v[4:5], v9, v[4:5]
	v_cndmask_b32_e32 v9, v10, v11, vcc_lo
; %bb.23:                               ;   in Loop: Header=BB39_18 Depth=1
	s_and_not1_saveexec_b32 s0, s0
	s_cbranch_execz .LBB39_14
; %bb.24:                               ;   in Loop: Header=BB39_18 Depth=1
	s_delay_alu instid0(VALU_DEP_2)
	v_bfe_u32 v9, v4, 23, 1
	s_branch .LBB39_14
.LBB39_25:
	s_nop 0
	s_sendmsg sendmsg(MSG_DEALLOC_VGPRS)
	s_endpgm
	.section	.rodata,"a",@progbits
	.p2align	6, 0x0
	.amdhsa_kernel _ZN4vllm42fused_add_rms_norm_static_fp8_quant_kernelIN3c104HalfELi0ENS1_15Float8_e4m3fnuzEEENSt9enable_ifIXooeqT0_Li0Entsr12_typeConvertIT_EE6existsEvE4typeEPT1_PS5_iSA_PKS5_PKffii
		.amdhsa_group_segment_fixed_size 132
		.amdhsa_private_segment_fixed_size 0
		.amdhsa_kernarg_size 320
		.amdhsa_user_sgpr_count 15
		.amdhsa_user_sgpr_dispatch_ptr 0
		.amdhsa_user_sgpr_queue_ptr 0
		.amdhsa_user_sgpr_kernarg_segment_ptr 1
		.amdhsa_user_sgpr_dispatch_id 0
		.amdhsa_user_sgpr_private_segment_size 0
		.amdhsa_wavefront_size32 1
		.amdhsa_uses_dynamic_stack 0
		.amdhsa_enable_private_segment 0
		.amdhsa_system_sgpr_workgroup_id_x 1
		.amdhsa_system_sgpr_workgroup_id_y 0
		.amdhsa_system_sgpr_workgroup_id_z 0
		.amdhsa_system_sgpr_workgroup_info 0
		.amdhsa_system_vgpr_workitem_id 0
		.amdhsa_next_free_vgpr 18
		.amdhsa_next_free_sgpr 19
		.amdhsa_reserve_vcc 1
		.amdhsa_float_round_mode_32 0
		.amdhsa_float_round_mode_16_64 0
		.amdhsa_float_denorm_mode_32 3
		.amdhsa_float_denorm_mode_16_64 3
		.amdhsa_dx10_clamp 1
		.amdhsa_ieee_mode 1
		.amdhsa_fp16_overflow 0
		.amdhsa_workgroup_processor_mode 1
		.amdhsa_memory_ordered 1
		.amdhsa_forward_progress 0
		.amdhsa_shared_vgpr_count 0
		.amdhsa_exception_fp_ieee_invalid_op 0
		.amdhsa_exception_fp_denorm_src 0
		.amdhsa_exception_fp_ieee_div_zero 0
		.amdhsa_exception_fp_ieee_overflow 0
		.amdhsa_exception_fp_ieee_underflow 0
		.amdhsa_exception_fp_ieee_inexact 0
		.amdhsa_exception_int_div_zero 0
	.end_amdhsa_kernel
	.section	.text._ZN4vllm42fused_add_rms_norm_static_fp8_quant_kernelIN3c104HalfELi0ENS1_15Float8_e4m3fnuzEEENSt9enable_ifIXooeqT0_Li0Entsr12_typeConvertIT_EE6existsEvE4typeEPT1_PS5_iSA_PKS5_PKffii,"axG",@progbits,_ZN4vllm42fused_add_rms_norm_static_fp8_quant_kernelIN3c104HalfELi0ENS1_15Float8_e4m3fnuzEEENSt9enable_ifIXooeqT0_Li0Entsr12_typeConvertIT_EE6existsEvE4typeEPT1_PS5_iSA_PKS5_PKffii,comdat
.Lfunc_end39:
	.size	_ZN4vllm42fused_add_rms_norm_static_fp8_quant_kernelIN3c104HalfELi0ENS1_15Float8_e4m3fnuzEEENSt9enable_ifIXooeqT0_Li0Entsr12_typeConvertIT_EE6existsEvE4typeEPT1_PS5_iSA_PKS5_PKffii, .Lfunc_end39-_ZN4vllm42fused_add_rms_norm_static_fp8_quant_kernelIN3c104HalfELi0ENS1_15Float8_e4m3fnuzEEENSt9enable_ifIXooeqT0_Li0Entsr12_typeConvertIT_EE6existsEvE4typeEPT1_PS5_iSA_PKS5_PKffii
                                        ; -- End function
	.section	.AMDGPU.csdata,"",@progbits
; Kernel info:
; codeLenInByte = 1928
; NumSgprs: 21
; NumVgprs: 18
; ScratchSize: 0
; MemoryBound: 0
; FloatMode: 240
; IeeeMode: 1
; LDSByteSize: 132 bytes/workgroup (compile time only)
; SGPRBlocks: 2
; VGPRBlocks: 2
; NumSGPRsForWavesPerEU: 21
; NumVGPRsForWavesPerEU: 18
; Occupancy: 16
; WaveLimiterHint : 0
; COMPUTE_PGM_RSRC2:SCRATCH_EN: 0
; COMPUTE_PGM_RSRC2:USER_SGPR: 15
; COMPUTE_PGM_RSRC2:TRAP_HANDLER: 0
; COMPUTE_PGM_RSRC2:TGID_X_EN: 1
; COMPUTE_PGM_RSRC2:TGID_Y_EN: 0
; COMPUTE_PGM_RSRC2:TGID_Z_EN: 0
; COMPUTE_PGM_RSRC2:TIDIG_COMP_CNT: 0
	.section	.text._ZN4vllm42fused_add_rms_norm_static_fp8_quant_kernelIN3c108BFloat16ELi0ENS1_13Float8_e4m3fnEEENSt9enable_ifIXooeqT0_Li0Entsr12_typeConvertIT_EE6existsEvE4typeEPT1_PS5_iSA_PKS5_PKffii,"axG",@progbits,_ZN4vllm42fused_add_rms_norm_static_fp8_quant_kernelIN3c108BFloat16ELi0ENS1_13Float8_e4m3fnEEENSt9enable_ifIXooeqT0_Li0Entsr12_typeConvertIT_EE6existsEvE4typeEPT1_PS5_iSA_PKS5_PKffii,comdat
	.protected	_ZN4vllm42fused_add_rms_norm_static_fp8_quant_kernelIN3c108BFloat16ELi0ENS1_13Float8_e4m3fnEEENSt9enable_ifIXooeqT0_Li0Entsr12_typeConvertIT_EE6existsEvE4typeEPT1_PS5_iSA_PKS5_PKffii ; -- Begin function _ZN4vllm42fused_add_rms_norm_static_fp8_quant_kernelIN3c108BFloat16ELi0ENS1_13Float8_e4m3fnEEENSt9enable_ifIXooeqT0_Li0Entsr12_typeConvertIT_EE6existsEvE4typeEPT1_PS5_iSA_PKS5_PKffii
	.globl	_ZN4vllm42fused_add_rms_norm_static_fp8_quant_kernelIN3c108BFloat16ELi0ENS1_13Float8_e4m3fnEEENSt9enable_ifIXooeqT0_Li0Entsr12_typeConvertIT_EE6existsEvE4typeEPT1_PS5_iSA_PKS5_PKffii
	.p2align	8
	.type	_ZN4vllm42fused_add_rms_norm_static_fp8_quant_kernelIN3c108BFloat16ELi0ENS1_13Float8_e4m3fnEEENSt9enable_ifIXooeqT0_Li0Entsr12_typeConvertIT_EE6existsEvE4typeEPT1_PS5_iSA_PKS5_PKffii,@function
_ZN4vllm42fused_add_rms_norm_static_fp8_quant_kernelIN3c108BFloat16ELi0ENS1_13Float8_e4m3fnEEENSt9enable_ifIXooeqT0_Li0Entsr12_typeConvertIT_EE6existsEvE4typeEPT1_PS5_iSA_PKS5_PKffii: ; @_ZN4vllm42fused_add_rms_norm_static_fp8_quant_kernelIN3c108BFloat16ELi0ENS1_13Float8_e4m3fnEEENSt9enable_ifIXooeqT0_Li0Entsr12_typeConvertIT_EE6existsEvE4typeEPT1_PS5_iSA_PKS5_PKffii
; %bb.0:
	s_clause 0x1
	s_load_b32 s3, s[0:1], 0x38
	s_load_b64 s[8:9], s[0:1], 0x18
	s_mov_b32 s4, exec_lo
                                        ; implicit-def: $sgpr13
                                        ; implicit-def: $sgpr12
	s_waitcnt lgkmcnt(0)
	v_cmp_gt_i32_e64 s2, s3, v0
	v_cmpx_le_i32_e64 s3, v0
	s_xor_b32 s4, exec_lo, s4
	s_cbranch_execz .LBB40_2
; %bb.1:
	s_load_b32 s5, s[0:1], 0x4c
	s_mov_b32 s13, 0
	s_waitcnt lgkmcnt(0)
	s_and_b32 s12, s5, 0xffff
.LBB40_2:
	s_or_saveexec_b32 s16, s4
	s_clause 0x1
	s_load_b64 s[10:11], s[0:1], 0x0
	s_load_b128 s[4:7], s[0:1], 0x20
	v_dual_mov_b32 v3, s13 :: v_dual_mov_b32 v6, s12
	s_mul_i32 s14, s15, s3
	s_xor_b32 exec_lo, exec_lo, s16
	s_cbranch_execz .LBB40_6
; %bb.3:
	s_clause 0x2
	s_load_b32 s17, s[0:1], 0x10
	s_load_b32 s18, s[0:1], 0x4c
	s_load_b64 s[12:13], s[0:1], 0x8
	v_dual_mov_b32 v2, 0 :: v_dual_mov_b32 v3, 0
	v_mov_b32_e32 v4, v0
	s_waitcnt lgkmcnt(0)
	s_mul_i32 s17, s15, s17
	s_and_b32 s15, s18, 0xffff
	s_mov_b32 s18, 0
	s_set_inst_prefetch_distance 0x1
	.p2align	6
.LBB40_4:                               ; =>This Inner Loop Header: Depth=1
	v_add_nc_u32_e32 v1, s17, v4
	s_delay_alu instid0(VALU_DEP_1) | instskip(SKIP_2) | instid1(VALU_DEP_2)
	v_lshlrev_b64 v[5:6], 1, v[1:2]
	v_add_nc_u32_e32 v1, s14, v4
	v_add_nc_u32_e32 v4, s15, v4
	v_lshlrev_b64 v[7:8], 1, v[1:2]
	s_delay_alu instid0(VALU_DEP_4) | instskip(SKIP_1) | instid1(VALU_DEP_3)
	v_add_co_u32 v5, vcc_lo, s12, v5
	v_add_co_ci_u32_e32 v6, vcc_lo, s13, v6, vcc_lo
	v_add_co_u32 v7, vcc_lo, s8, v7
	s_delay_alu instid0(VALU_DEP_4)
	v_add_co_ci_u32_e32 v8, vcc_lo, s9, v8, vcc_lo
	global_load_u16 v1, v[5:6], off
	global_load_u16 v5, v[7:8], off
	s_waitcnt vmcnt(1)
	v_lshlrev_b32_e32 v1, 16, v1
	s_waitcnt vmcnt(0)
	v_lshlrev_b32_e32 v5, 16, v5
	s_delay_alu instid0(VALU_DEP_1) | instskip(NEXT) | instid1(VALU_DEP_1)
	v_add_f32_e32 v1, v1, v5
	v_bfe_u32 v5, v1, 16, 1
	v_cmp_o_f32_e32 vcc_lo, v1, v1
	s_delay_alu instid0(VALU_DEP_2) | instskip(NEXT) | instid1(VALU_DEP_1)
	v_add3_u32 v5, v1, v5, 0x7fff
	v_lshrrev_b32_e32 v5, 16, v5
	s_delay_alu instid0(VALU_DEP_1) | instskip(SKIP_1) | instid1(VALU_DEP_2)
	v_cndmask_b32_e32 v1, 0x7fc0, v5, vcc_lo
	v_cmp_le_i32_e32 vcc_lo, s3, v4
	v_lshlrev_b32_e32 v5, 16, v1
	s_or_b32 s18, vcc_lo, s18
	global_store_b16 v[7:8], v1, off
	v_fmac_f32_e32 v3, v5, v5
	s_and_not1_b32 exec_lo, exec_lo, s18
	s_cbranch_execnz .LBB40_4
; %bb.5:
	s_set_inst_prefetch_distance 0x2
	s_or_b32 exec_lo, exec_lo, s18
	v_mov_b32_e32 v6, s15
.LBB40_6:
	s_or_b32 exec_lo, exec_lo, s16
	v_mbcnt_lo_u32_b32 v1, -1, 0
	v_and_b32_e32 v4, 0x3e0, v0
	s_mov_b32 s12, exec_lo
	s_delay_alu instid0(VALU_DEP_2) | instskip(NEXT) | instid1(VALU_DEP_2)
	v_cmp_ne_u32_e32 vcc_lo, 31, v1
	v_sub_nc_u32_e64 v13, v6, v4 clamp
	v_add_nc_u32_e32 v4, 1, v1
	v_add_co_ci_u32_e32 v2, vcc_lo, 0, v1, vcc_lo
	v_cmp_gt_u32_e32 vcc_lo, 30, v1
	s_delay_alu instid0(VALU_DEP_2)
	v_lshlrev_b32_e32 v2, 2, v2
	v_cndmask_b32_e64 v7, 0, 1, vcc_lo
	v_cmp_lt_u32_e32 vcc_lo, v4, v13
	ds_bpermute_b32 v5, v2, v3
	s_waitcnt lgkmcnt(0)
	v_dual_add_f32 v8, v3, v5 :: v_dual_lshlrev_b32 v7, 1, v7
	s_delay_alu instid0(VALU_DEP_1) | instskip(NEXT) | instid1(VALU_DEP_2)
	v_add_lshl_u32 v5, v7, v1, 2
	v_cndmask_b32_e32 v8, v3, v8, vcc_lo
	v_cmp_gt_u32_e32 vcc_lo, 28, v1
	v_cndmask_b32_e64 v3, 0, 1, vcc_lo
	s_delay_alu instid0(VALU_DEP_1) | instskip(SKIP_3) | instid1(VALU_DEP_1)
	v_lshlrev_b32_e32 v9, 2, v3
	ds_bpermute_b32 v7, v5, v8
	s_waitcnt lgkmcnt(0)
	v_dual_add_f32 v10, v8, v7 :: v_dual_add_nc_u32 v3, 2, v1
	v_cmp_lt_u32_e32 vcc_lo, v3, v13
	v_add_lshl_u32 v7, v9, v1, 2
	s_delay_alu instid0(VALU_DEP_3) | instskip(SKIP_2) | instid1(VALU_DEP_1)
	v_cndmask_b32_e32 v10, v8, v10, vcc_lo
	v_cmp_gt_u32_e32 vcc_lo, 24, v1
	v_cndmask_b32_e64 v8, 0, 1, vcc_lo
	v_lshlrev_b32_e32 v11, 3, v8
	ds_bpermute_b32 v9, v7, v10
	v_add_nc_u32_e32 v8, 4, v1
	s_delay_alu instid0(VALU_DEP_1) | instskip(SKIP_3) | instid1(VALU_DEP_2)
	v_cmp_lt_u32_e32 vcc_lo, v8, v13
	s_waitcnt lgkmcnt(0)
	v_add_f32_e32 v12, v10, v9
	v_add_lshl_u32 v9, v11, v1, 2
	v_cndmask_b32_e32 v12, v10, v12, vcc_lo
	v_cmp_gt_u32_e32 vcc_lo, 16, v1
	ds_bpermute_b32 v11, v9, v12
	v_cndmask_b32_e64 v10, 0, 1, vcc_lo
	s_delay_alu instid0(VALU_DEP_1) | instskip(SKIP_1) | instid1(VALU_DEP_1)
	v_lshlrev_b32_e32 v14, 4, v10
	v_add_nc_u32_e32 v10, 8, v1
	v_cmp_lt_u32_e32 vcc_lo, v10, v13
	s_waitcnt lgkmcnt(0)
	v_add_f32_e32 v15, v12, v11
	v_add_lshl_u32 v11, v14, v1, 2
	s_delay_alu instid0(VALU_DEP_2)
	v_cndmask_b32_e32 v14, v12, v15, vcc_lo
	v_add_nc_u32_e32 v12, 16, v1
	ds_bpermute_b32 v15, v11, v14
	v_cmp_lt_u32_e32 vcc_lo, v12, v13
	s_waitcnt lgkmcnt(0)
	v_add_f32_e32 v15, v14, v15
	s_delay_alu instid0(VALU_DEP_1)
	v_cndmask_b32_e32 v13, v14, v15, vcc_lo
	v_cmpx_eq_u32_e32 0, v1
	s_cbranch_execz .LBB40_8
; %bb.7:
	v_lshrrev_b32_e32 v14, 3, v0
	s_delay_alu instid0(VALU_DEP_1)
	v_and_b32_e32 v14, 0x7c, v14
	ds_store_b32 v14, v13
.LBB40_8:
	s_or_b32 exec_lo, exec_lo, s12
	s_delay_alu instid0(SALU_CYCLE_1)
	s_mov_b32 s12, exec_lo
	s_waitcnt lgkmcnt(0)
	s_waitcnt_vscnt null, 0x0
	s_barrier
	buffer_gl0_inv
	v_cmpx_gt_u32_e32 32, v0
	s_cbranch_execz .LBB40_10
; %bb.9:
	v_lshlrev_b32_e32 v1, 2, v1
	v_add_nc_u32_e32 v13, 31, v6
	ds_load_b32 v1, v1
	v_lshrrev_b32_e32 v13, 5, v13
	s_delay_alu instid0(VALU_DEP_1) | instskip(SKIP_4) | instid1(VALU_DEP_1)
	v_cmp_lt_u32_e32 vcc_lo, v4, v13
	s_waitcnt lgkmcnt(0)
	ds_bpermute_b32 v2, v2, v1
	s_waitcnt lgkmcnt(0)
	v_add_f32_e32 v2, v1, v2
	v_cndmask_b32_e32 v1, v1, v2, vcc_lo
	v_cmp_lt_u32_e32 vcc_lo, v3, v13
	ds_bpermute_b32 v2, v5, v1
	s_waitcnt lgkmcnt(0)
	v_add_f32_e32 v2, v1, v2
	s_delay_alu instid0(VALU_DEP_1) | instskip(SKIP_4) | instid1(VALU_DEP_1)
	v_cndmask_b32_e32 v1, v1, v2, vcc_lo
	v_cmp_lt_u32_e32 vcc_lo, v8, v13
	ds_bpermute_b32 v2, v7, v1
	s_waitcnt lgkmcnt(0)
	v_add_f32_e32 v2, v1, v2
	v_cndmask_b32_e32 v1, v1, v2, vcc_lo
	v_cmp_lt_u32_e32 vcc_lo, v10, v13
	ds_bpermute_b32 v2, v9, v1
	s_waitcnt lgkmcnt(0)
	v_add_f32_e32 v2, v1, v2
	s_delay_alu instid0(VALU_DEP_1) | instskip(SKIP_4) | instid1(VALU_DEP_1)
	v_cndmask_b32_e32 v1, v1, v2, vcc_lo
	v_cmp_lt_u32_e32 vcc_lo, v12, v13
	ds_bpermute_b32 v2, v11, v1
	s_waitcnt lgkmcnt(0)
	v_add_f32_e32 v2, v1, v2
	v_cndmask_b32_e32 v13, v1, v2, vcc_lo
.LBB40_10:
	s_or_b32 exec_lo, exec_lo, s12
	s_delay_alu instid0(SALU_CYCLE_1)
	s_mov_b32 s12, exec_lo
	v_cmpx_eq_u32_e32 0, v0
	s_cbranch_execz .LBB40_12
; %bb.11:
	v_cvt_f32_i32_e32 v1, s3
	s_load_b32 s0, s[0:1], 0x30
	s_delay_alu instid0(VALU_DEP_1) | instskip(SKIP_1) | instid1(VALU_DEP_2)
	v_div_scale_f32 v2, null, v1, v1, v13
	v_div_scale_f32 v5, vcc_lo, v13, v1, v13
	v_rcp_f32_e32 v3, v2
	s_waitcnt_depctr 0xfff
	v_fma_f32 v4, -v2, v3, 1.0
	s_delay_alu instid0(VALU_DEP_1) | instskip(NEXT) | instid1(VALU_DEP_1)
	v_fmac_f32_e32 v3, v4, v3
	v_mul_f32_e32 v4, v5, v3
	s_delay_alu instid0(VALU_DEP_1) | instskip(NEXT) | instid1(VALU_DEP_1)
	v_fma_f32 v7, -v2, v4, v5
	v_fmac_f32_e32 v4, v7, v3
	s_delay_alu instid0(VALU_DEP_1) | instskip(NEXT) | instid1(VALU_DEP_1)
	v_fma_f32 v2, -v2, v4, v5
	v_div_fmas_f32 v2, v2, v3, v4
	s_delay_alu instid0(VALU_DEP_1) | instskip(SKIP_1) | instid1(VALU_DEP_1)
	v_div_fixup_f32 v1, v2, v1, v13
	s_waitcnt lgkmcnt(0)
	v_add_f32_e32 v1, s0, v1
	s_delay_alu instid0(VALU_DEP_1) | instskip(SKIP_1) | instid1(VALU_DEP_2)
	v_mul_f32_e32 v2, 0x4b800000, v1
	v_cmp_gt_f32_e32 vcc_lo, 0x800000, v1
	v_cndmask_b32_e32 v1, v1, v2, vcc_lo
	s_delay_alu instid0(VALU_DEP_1) | instskip(SKIP_2) | instid1(VALU_DEP_1)
	v_rsq_f32_e32 v1, v1
	s_waitcnt_depctr 0xfff
	v_mul_f32_e32 v2, 0x45800000, v1
	v_dual_cndmask_b32 v1, v1, v2 :: v_dual_mov_b32 v2, 0
	ds_store_b32 v2, v1 offset:128
.LBB40_12:
	s_or_b32 exec_lo, exec_lo, s12
	s_waitcnt lgkmcnt(0)
	s_barrier
	buffer_gl0_inv
	s_and_saveexec_b32 s0, s2
	s_cbranch_execz .LBB40_31
; %bb.13:
	s_load_b32 s0, s[6:7], 0x0
	s_mov_b32 s2, 0
	s_mov_b32 s6, 0x43e00000
	s_waitcnt lgkmcnt(0)
	v_div_scale_f32 v1, null, s0, s0, 1.0
	v_div_scale_f32 v4, vcc_lo, 1.0, s0, 1.0
	s_delay_alu instid0(VALU_DEP_2) | instskip(SKIP_2) | instid1(VALU_DEP_1)
	v_rcp_f32_e32 v2, v1
	s_waitcnt_depctr 0xfff
	v_fma_f32 v3, -v1, v2, 1.0
	v_dual_fmac_f32 v2, v3, v2 :: v_dual_mov_b32 v3, 0
	s_delay_alu instid0(VALU_DEP_1) | instskip(NEXT) | instid1(VALU_DEP_1)
	v_mul_f32_e32 v5, v4, v2
	v_fma_f32 v7, -v1, v5, v4
	s_delay_alu instid0(VALU_DEP_1) | instskip(SKIP_2) | instid1(VALU_DEP_1)
	v_fmac_f32_e32 v5, v7, v2
	ds_load_b32 v7, v3 offset:128
	v_fma_f32 v1, -v1, v5, v4
	v_div_fmas_f32 v1, v1, v2, v5
	s_delay_alu instid0(VALU_DEP_1)
	v_div_fixup_f32 v8, v1, s0, 1.0
	s_branch .LBB40_15
.LBB40_14:                              ;   in Loop: Header=BB40_15 Depth=1
	s_or_b32 exec_lo, exec_lo, s0
	v_add_nc_u32_e32 v0, v0, v6
	v_add_co_u32 v1, s0, s10, v2
	s_delay_alu instid0(VALU_DEP_1) | instskip(NEXT) | instid1(VALU_DEP_3)
	v_add_co_ci_u32_e64 v2, null, s11, 0, s0
	v_cmp_le_i32_e32 vcc_lo, s3, v0
	global_store_b8 v[1:2], v9, off
	s_or_b32 s2, vcc_lo, s2
	s_delay_alu instid0(SALU_CYCLE_1)
	s_and_not1_b32 exec_lo, exec_lo, s2
	s_cbranch_execz .LBB40_31
.LBB40_15:                              ; =>This Inner Loop Header: Depth=1
	v_add_nc_u32_e32 v2, s14, v0
	v_ashrrev_i32_e32 v1, 31, v0
	s_mov_b32 s0, exec_lo
	v_mov_b32_e32 v13, v3
	s_delay_alu instid0(VALU_DEP_3) | instskip(NEXT) | instid1(VALU_DEP_1)
	v_lshlrev_b64 v[4:5], 1, v[2:3]
	v_add_co_u32 v4, vcc_lo, s8, v4
	s_delay_alu instid0(VALU_DEP_2) | instskip(SKIP_2) | instid1(VALU_DEP_1)
	v_add_co_ci_u32_e32 v5, vcc_lo, s9, v5, vcc_lo
	global_load_u16 v9, v[4:5], off
	v_lshlrev_b64 v[4:5], 1, v[0:1]
	v_add_co_u32 v4, vcc_lo, s4, v4
	s_delay_alu instid0(VALU_DEP_2) | instskip(SKIP_4) | instid1(VALU_DEP_1)
	v_add_co_ci_u32_e32 v5, vcc_lo, s5, v5, vcc_lo
	global_load_u16 v1, v[4:5], off
	s_waitcnt vmcnt(1)
	v_lshlrev_b32_e32 v4, 16, v9
	s_waitcnt lgkmcnt(0)
	v_mul_f32_e32 v4, v7, v4
	s_delay_alu instid0(VALU_DEP_1) | instskip(SKIP_2) | instid1(VALU_DEP_2)
	v_bfe_u32 v5, v4, 16, 1
	s_waitcnt vmcnt(0)
	v_lshlrev_b32_e32 v1, 16, v1
	v_add3_u32 v5, v4, v5, 0x7fff
	s_delay_alu instid0(VALU_DEP_1) | instskip(SKIP_1) | instid1(VALU_DEP_2)
	v_and_b32_e32 v5, 0xffff0000, v5
	v_cmp_o_f32_e32 vcc_lo, v4, v4
	v_dual_cndmask_b32 v4, 0x7fc00000, v5 :: v_dual_mov_b32 v5, v3
	s_delay_alu instid0(VALU_DEP_1) | instskip(NEXT) | instid1(VALU_DEP_1)
	v_mul_f32_e32 v1, v4, v1
	v_bfe_u32 v4, v1, 16, 1
	v_cmp_o_f32_e32 vcc_lo, v1, v1
	s_delay_alu instid0(VALU_DEP_2) | instskip(NEXT) | instid1(VALU_DEP_1)
	v_add3_u32 v4, v1, v4, 0x7fff
	v_and_b32_e32 v4, 0xffff0000, v4
	s_delay_alu instid0(VALU_DEP_1) | instskip(NEXT) | instid1(VALU_DEP_1)
	v_cndmask_b32_e32 v1, 0x7fc00000, v4, vcc_lo
	v_mul_f32_e32 v1, v8, v1
	s_delay_alu instid0(VALU_DEP_1) | instskip(NEXT) | instid1(VALU_DEP_1)
	v_minmax_f32 v10, v1, s6, 0xc3e00000
	v_lshrrev_b32_e32 v11, 24, v10
	v_and_b32_e32 v12, 0x7f800000, v10
	v_and_b32_e32 v4, 0x7fffff, v10
	s_delay_alu instid0(VALU_DEP_3) | instskip(NEXT) | instid1(VALU_DEP_1)
	v_and_b32_e32 v1, 0x80, v11
	v_or_b32_e32 v9, 0x7e, v1
	s_delay_alu instid0(VALU_DEP_4)
	v_cmpx_ne_u64_e32 0x7f800000, v[12:13]
	s_xor_b32 s7, exec_lo, s0
	s_cbranch_execz .LBB40_29
; %bb.16:                               ;   in Loop: Header=BB40_15 Depth=1
	v_dual_mov_b32 v12, v3 :: v_dual_and_b32 v11, 0x7fffffff, v10
	s_mov_b32 s0, exec_lo
	s_delay_alu instid0(VALU_DEP_1)
	v_cmpx_gt_u64_e32 0x43e00001, v[11:12]
	s_xor_b32 s12, exec_lo, s0
	s_cbranch_execz .LBB40_28
; %bb.17:                               ;   in Loop: Header=BB40_15 Depth=1
	v_mov_b32_e32 v9, 0
	s_mov_b32 s13, exec_lo
	v_cmpx_ne_u32_e32 0, v10
	s_cbranch_execz .LBB40_27
; %bb.18:                               ;   in Loop: Header=BB40_15 Depth=1
	v_bfe_u32 v11, v10, 23, 8
	s_delay_alu instid0(VALU_DEP_1) | instskip(SKIP_2) | instid1(VALU_DEP_3)
	v_sub_nc_u32_e64 v9, 0x79, v11 clamp
	v_cmp_eq_u32_e32 vcc_lo, 0, v11
	v_add_nc_u32_e32 v11, 0xffffff88, v11
	v_cndmask_b32_e64 v16, v9, 0x78, vcc_lo
	v_or_b32_e32 v9, 0x800000, v4
	s_delay_alu instid0(VALU_DEP_2) | instskip(NEXT) | instid1(VALU_DEP_2)
	v_add_nc_u32_e32 v10, 20, v16
	v_cndmask_b32_e32 v4, v9, v4, vcc_lo
	v_add_nc_u32_e32 v14, 19, v16
	s_delay_alu instid0(VALU_DEP_3) | instskip(NEXT) | instid1(VALU_DEP_3)
	v_lshlrev_b64 v[9:10], v10, -1
	v_lshrrev_b64 v[12:13], v16, v[4:5]
	s_delay_alu instid0(VALU_DEP_3) | instskip(NEXT) | instid1(VALU_DEP_3)
	v_lshlrev_b64 v[14:15], v14, 1
	v_not_b32_e32 v5, v10
	s_delay_alu instid0(VALU_DEP_4) | instskip(NEXT) | instid1(VALU_DEP_4)
	v_not_b32_e32 v17, v9
	v_dual_mov_b32 v10, v3 :: v_dual_and_b32 v9, 0x100000, v12
	s_delay_alu instid0(VALU_DEP_3) | instskip(NEXT) | instid1(VALU_DEP_3)
	v_and_b32_e32 v5, 0, v5
	v_and_b32_e32 v4, v4, v17
	s_delay_alu instid0(VALU_DEP_3) | instskip(NEXT) | instid1(VALU_DEP_2)
	v_cmp_eq_u64_e64 s0, 0, v[9:10]
	v_cmp_eq_u64_e64 s1, v[4:5], v[14:15]
	v_cndmask_b32_e64 v4, v11, 0xffffff89, vcc_lo
	v_lshrrev_b32_e32 v5, 23, v12
	s_delay_alu instid0(VALU_DEP_3) | instskip(NEXT) | instid1(VALU_DEP_1)
	s_and_b32 vcc_lo, s0, s1
	v_add3_u32 v9, v4, v16, v5
	v_subrev_co_ci_u32_e32 v10, vcc_lo, 0, v12, vcc_lo
	s_mov_b32 s0, exec_lo
	s_delay_alu instid0(VALU_DEP_2) | instskip(NEXT) | instid1(VALU_DEP_2)
	v_add_nc_u32_e32 v11, -1, v9
	v_and_b32_e32 v4, 0xfffff, v10
                                        ; implicit-def: $vgpr10
	s_delay_alu instid0(VALU_DEP_1) | instskip(SKIP_1) | instid1(VALU_DEP_4)
	v_add_co_u32 v4, vcc_lo, v4, v12
	v_add_co_ci_u32_e32 v5, vcc_lo, 0, v13, vcc_lo
	v_cmpx_ne_u32_e32 0, v11
	s_xor_b32 s0, exec_lo, s0
; %bb.19:                               ;   in Loop: Header=BB40_15 Depth=1
	s_delay_alu instid0(VALU_DEP_3) | instskip(SKIP_1) | instid1(VALU_DEP_2)
	v_dual_mov_b32 v13, v3 :: v_dual_and_b32 v12, 0x1000000, v4
	v_bfe_u32 v10, v4, 24, 1
	v_cmp_eq_u64_e32 vcc_lo, 0, v[12:13]
	s_delay_alu instid0(VALU_DEP_2)
	v_lshrrev_b64 v[4:5], v10, v[4:5]
	v_cndmask_b32_e32 v10, v9, v11, vcc_lo
; %bb.20:                               ;   in Loop: Header=BB40_15 Depth=1
	s_and_not1_saveexec_b32 s0, s0
; %bb.21:                               ;   in Loop: Header=BB40_15 Depth=1
	s_delay_alu instid0(VALU_DEP_2)
	v_bfe_u32 v10, v4, 23, 1
; %bb.22:                               ;   in Loop: Header=BB40_15 Depth=1
	s_or_b32 exec_lo, exec_lo, s0
	s_delay_alu instid0(VALU_DEP_3) | instskip(NEXT) | instid1(VALU_DEP_2)
	v_lshrrev_b64 v[4:5], 20, v[4:5]
	v_cmp_gt_i32_e32 vcc_lo, 16, v10
	v_cmp_ne_u32_e64 s0, 0, v10
                                        ; implicit-def: $vgpr9
	s_delay_alu instid0(VALU_DEP_3) | instskip(NEXT) | instid1(VALU_DEP_1)
	v_dual_cndmask_b32 v5, 0, v5 :: v_dual_cndmask_b32 v4, 7, v4
	v_cmp_ne_u64_e32 vcc_lo, 0, v[4:5]
	s_delay_alu instid0(VALU_DEP_3) | instskip(NEXT) | instid1(SALU_CYCLE_1)
	s_or_b32 s0, s0, vcc_lo
	s_and_saveexec_b32 s1, s0
	s_delay_alu instid0(SALU_CYCLE_1)
	s_xor_b32 s0, exec_lo, s1
; %bb.23:                               ;   in Loop: Header=BB40_15 Depth=1
	v_min_i32_e32 v5, 15, v10
	s_delay_alu instid0(VALU_DEP_1) | instskip(NEXT) | instid1(VALU_DEP_1)
	v_lshl_or_b32 v1, v5, 3, v1
	v_and_or_b32 v9, v4, 7, v1
                                        ; implicit-def: $vgpr1
; %bb.24:                               ;   in Loop: Header=BB40_15 Depth=1
	s_and_not1_saveexec_b32 s0, s0
; %bb.25:                               ;   in Loop: Header=BB40_15 Depth=1
	v_mov_b32_e32 v9, v1
; %bb.26:                               ;   in Loop: Header=BB40_15 Depth=1
	s_or_b32 exec_lo, exec_lo, s0
.LBB40_27:                              ;   in Loop: Header=BB40_15 Depth=1
	s_delay_alu instid0(SALU_CYCLE_1)
	s_or_b32 exec_lo, exec_lo, s13
.LBB40_28:                              ;   in Loop: Header=BB40_15 Depth=1
	s_and_not1_saveexec_b32 s0, s12
	s_delay_alu instid0(SALU_CYCLE_1)
	s_or_b32 exec_lo, exec_lo, s0
                                        ; implicit-def: $vgpr11
                                        ; implicit-def: $vgpr4_vgpr5
.LBB40_29:                              ;   in Loop: Header=BB40_15 Depth=1
	s_and_not1_saveexec_b32 s0, s7
	s_cbranch_execz .LBB40_14
; %bb.30:                               ;   in Loop: Header=BB40_15 Depth=1
	v_cmp_eq_u64_e32 vcc_lo, 0, v[4:5]
	v_or_b32_e32 v1, 0x7f, v11
	s_delay_alu instid0(VALU_DEP_1)
	v_cndmask_b32_e32 v9, v1, v9, vcc_lo
	s_branch .LBB40_14
.LBB40_31:
	s_nop 0
	s_sendmsg sendmsg(MSG_DEALLOC_VGPRS)
	s_endpgm
	.section	.rodata,"a",@progbits
	.p2align	6, 0x0
	.amdhsa_kernel _ZN4vllm42fused_add_rms_norm_static_fp8_quant_kernelIN3c108BFloat16ELi0ENS1_13Float8_e4m3fnEEENSt9enable_ifIXooeqT0_Li0Entsr12_typeConvertIT_EE6existsEvE4typeEPT1_PS5_iSA_PKS5_PKffii
		.amdhsa_group_segment_fixed_size 132
		.amdhsa_private_segment_fixed_size 0
		.amdhsa_kernarg_size 320
		.amdhsa_user_sgpr_count 15
		.amdhsa_user_sgpr_dispatch_ptr 0
		.amdhsa_user_sgpr_queue_ptr 0
		.amdhsa_user_sgpr_kernarg_segment_ptr 1
		.amdhsa_user_sgpr_dispatch_id 0
		.amdhsa_user_sgpr_private_segment_size 0
		.amdhsa_wavefront_size32 1
		.amdhsa_uses_dynamic_stack 0
		.amdhsa_enable_private_segment 0
		.amdhsa_system_sgpr_workgroup_id_x 1
		.amdhsa_system_sgpr_workgroup_id_y 0
		.amdhsa_system_sgpr_workgroup_id_z 0
		.amdhsa_system_sgpr_workgroup_info 0
		.amdhsa_system_vgpr_workitem_id 0
		.amdhsa_next_free_vgpr 18
		.amdhsa_next_free_sgpr 19
		.amdhsa_reserve_vcc 1
		.amdhsa_float_round_mode_32 0
		.amdhsa_float_round_mode_16_64 0
		.amdhsa_float_denorm_mode_32 3
		.amdhsa_float_denorm_mode_16_64 3
		.amdhsa_dx10_clamp 1
		.amdhsa_ieee_mode 1
		.amdhsa_fp16_overflow 0
		.amdhsa_workgroup_processor_mode 1
		.amdhsa_memory_ordered 1
		.amdhsa_forward_progress 0
		.amdhsa_shared_vgpr_count 0
		.amdhsa_exception_fp_ieee_invalid_op 0
		.amdhsa_exception_fp_denorm_src 0
		.amdhsa_exception_fp_ieee_div_zero 0
		.amdhsa_exception_fp_ieee_overflow 0
		.amdhsa_exception_fp_ieee_underflow 0
		.amdhsa_exception_fp_ieee_inexact 0
		.amdhsa_exception_int_div_zero 0
	.end_amdhsa_kernel
	.section	.text._ZN4vllm42fused_add_rms_norm_static_fp8_quant_kernelIN3c108BFloat16ELi0ENS1_13Float8_e4m3fnEEENSt9enable_ifIXooeqT0_Li0Entsr12_typeConvertIT_EE6existsEvE4typeEPT1_PS5_iSA_PKS5_PKffii,"axG",@progbits,_ZN4vllm42fused_add_rms_norm_static_fp8_quant_kernelIN3c108BFloat16ELi0ENS1_13Float8_e4m3fnEEENSt9enable_ifIXooeqT0_Li0Entsr12_typeConvertIT_EE6existsEvE4typeEPT1_PS5_iSA_PKS5_PKffii,comdat
.Lfunc_end40:
	.size	_ZN4vllm42fused_add_rms_norm_static_fp8_quant_kernelIN3c108BFloat16ELi0ENS1_13Float8_e4m3fnEEENSt9enable_ifIXooeqT0_Li0Entsr12_typeConvertIT_EE6existsEvE4typeEPT1_PS5_iSA_PKS5_PKffii, .Lfunc_end40-_ZN4vllm42fused_add_rms_norm_static_fp8_quant_kernelIN3c108BFloat16ELi0ENS1_13Float8_e4m3fnEEENSt9enable_ifIXooeqT0_Li0Entsr12_typeConvertIT_EE6existsEvE4typeEPT1_PS5_iSA_PKS5_PKffii
                                        ; -- End function
	.section	.AMDGPU.csdata,"",@progbits
; Kernel info:
; codeLenInByte = 2144
; NumSgprs: 21
; NumVgprs: 18
; ScratchSize: 0
; MemoryBound: 0
; FloatMode: 240
; IeeeMode: 1
; LDSByteSize: 132 bytes/workgroup (compile time only)
; SGPRBlocks: 2
; VGPRBlocks: 2
; NumSGPRsForWavesPerEU: 21
; NumVGPRsForWavesPerEU: 18
; Occupancy: 16
; WaveLimiterHint : 0
; COMPUTE_PGM_RSRC2:SCRATCH_EN: 0
; COMPUTE_PGM_RSRC2:USER_SGPR: 15
; COMPUTE_PGM_RSRC2:TRAP_HANDLER: 0
; COMPUTE_PGM_RSRC2:TGID_X_EN: 1
; COMPUTE_PGM_RSRC2:TGID_Y_EN: 0
; COMPUTE_PGM_RSRC2:TGID_Z_EN: 0
; COMPUTE_PGM_RSRC2:TIDIG_COMP_CNT: 0
	.section	.text._ZN4vllm42fused_add_rms_norm_static_fp8_quant_kernelIN3c108BFloat16ELi0ENS1_15Float8_e4m3fnuzEEENSt9enable_ifIXooeqT0_Li0Entsr12_typeConvertIT_EE6existsEvE4typeEPT1_PS5_iSA_PKS5_PKffii,"axG",@progbits,_ZN4vllm42fused_add_rms_norm_static_fp8_quant_kernelIN3c108BFloat16ELi0ENS1_15Float8_e4m3fnuzEEENSt9enable_ifIXooeqT0_Li0Entsr12_typeConvertIT_EE6existsEvE4typeEPT1_PS5_iSA_PKS5_PKffii,comdat
	.protected	_ZN4vllm42fused_add_rms_norm_static_fp8_quant_kernelIN3c108BFloat16ELi0ENS1_15Float8_e4m3fnuzEEENSt9enable_ifIXooeqT0_Li0Entsr12_typeConvertIT_EE6existsEvE4typeEPT1_PS5_iSA_PKS5_PKffii ; -- Begin function _ZN4vllm42fused_add_rms_norm_static_fp8_quant_kernelIN3c108BFloat16ELi0ENS1_15Float8_e4m3fnuzEEENSt9enable_ifIXooeqT0_Li0Entsr12_typeConvertIT_EE6existsEvE4typeEPT1_PS5_iSA_PKS5_PKffii
	.globl	_ZN4vllm42fused_add_rms_norm_static_fp8_quant_kernelIN3c108BFloat16ELi0ENS1_15Float8_e4m3fnuzEEENSt9enable_ifIXooeqT0_Li0Entsr12_typeConvertIT_EE6existsEvE4typeEPT1_PS5_iSA_PKS5_PKffii
	.p2align	8
	.type	_ZN4vllm42fused_add_rms_norm_static_fp8_quant_kernelIN3c108BFloat16ELi0ENS1_15Float8_e4m3fnuzEEENSt9enable_ifIXooeqT0_Li0Entsr12_typeConvertIT_EE6existsEvE4typeEPT1_PS5_iSA_PKS5_PKffii,@function
_ZN4vllm42fused_add_rms_norm_static_fp8_quant_kernelIN3c108BFloat16ELi0ENS1_15Float8_e4m3fnuzEEENSt9enable_ifIXooeqT0_Li0Entsr12_typeConvertIT_EE6existsEvE4typeEPT1_PS5_iSA_PKS5_PKffii: ; @_ZN4vllm42fused_add_rms_norm_static_fp8_quant_kernelIN3c108BFloat16ELi0ENS1_15Float8_e4m3fnuzEEENSt9enable_ifIXooeqT0_Li0Entsr12_typeConvertIT_EE6existsEvE4typeEPT1_PS5_iSA_PKS5_PKffii
; %bb.0:
	s_clause 0x1
	s_load_b32 s3, s[0:1], 0x38
	s_load_b64 s[8:9], s[0:1], 0x18
	s_mov_b32 s4, exec_lo
                                        ; implicit-def: $sgpr13
                                        ; implicit-def: $sgpr12
	s_waitcnt lgkmcnt(0)
	v_cmp_gt_i32_e64 s2, s3, v0
	v_cmpx_le_i32_e64 s3, v0
	s_xor_b32 s4, exec_lo, s4
	s_cbranch_execz .LBB41_2
; %bb.1:
	s_load_b32 s5, s[0:1], 0x4c
	s_mov_b32 s13, 0
	s_waitcnt lgkmcnt(0)
	s_and_b32 s12, s5, 0xffff
.LBB41_2:
	s_or_saveexec_b32 s16, s4
	s_clause 0x1
	s_load_b64 s[10:11], s[0:1], 0x0
	s_load_b128 s[4:7], s[0:1], 0x20
	v_dual_mov_b32 v3, s13 :: v_dual_mov_b32 v6, s12
	s_mul_i32 s14, s15, s3
	s_xor_b32 exec_lo, exec_lo, s16
	s_cbranch_execz .LBB41_6
; %bb.3:
	s_clause 0x2
	s_load_b32 s17, s[0:1], 0x10
	s_load_b32 s18, s[0:1], 0x4c
	s_load_b64 s[12:13], s[0:1], 0x8
	v_dual_mov_b32 v2, 0 :: v_dual_mov_b32 v3, 0
	v_mov_b32_e32 v4, v0
	s_waitcnt lgkmcnt(0)
	s_mul_i32 s17, s15, s17
	s_and_b32 s15, s18, 0xffff
	s_mov_b32 s18, 0
	s_set_inst_prefetch_distance 0x1
	.p2align	6
.LBB41_4:                               ; =>This Inner Loop Header: Depth=1
	v_add_nc_u32_e32 v1, s17, v4
	s_delay_alu instid0(VALU_DEP_1) | instskip(SKIP_2) | instid1(VALU_DEP_2)
	v_lshlrev_b64 v[5:6], 1, v[1:2]
	v_add_nc_u32_e32 v1, s14, v4
	v_add_nc_u32_e32 v4, s15, v4
	v_lshlrev_b64 v[7:8], 1, v[1:2]
	s_delay_alu instid0(VALU_DEP_4) | instskip(SKIP_1) | instid1(VALU_DEP_3)
	v_add_co_u32 v5, vcc_lo, s12, v5
	v_add_co_ci_u32_e32 v6, vcc_lo, s13, v6, vcc_lo
	v_add_co_u32 v7, vcc_lo, s8, v7
	s_delay_alu instid0(VALU_DEP_4)
	v_add_co_ci_u32_e32 v8, vcc_lo, s9, v8, vcc_lo
	global_load_u16 v1, v[5:6], off
	global_load_u16 v5, v[7:8], off
	s_waitcnt vmcnt(1)
	v_lshlrev_b32_e32 v1, 16, v1
	s_waitcnt vmcnt(0)
	v_lshlrev_b32_e32 v5, 16, v5
	s_delay_alu instid0(VALU_DEP_1) | instskip(NEXT) | instid1(VALU_DEP_1)
	v_add_f32_e32 v1, v1, v5
	v_bfe_u32 v5, v1, 16, 1
	v_cmp_o_f32_e32 vcc_lo, v1, v1
	s_delay_alu instid0(VALU_DEP_2) | instskip(NEXT) | instid1(VALU_DEP_1)
	v_add3_u32 v5, v1, v5, 0x7fff
	v_lshrrev_b32_e32 v5, 16, v5
	s_delay_alu instid0(VALU_DEP_1) | instskip(SKIP_1) | instid1(VALU_DEP_2)
	v_cndmask_b32_e32 v1, 0x7fc0, v5, vcc_lo
	v_cmp_le_i32_e32 vcc_lo, s3, v4
	v_lshlrev_b32_e32 v5, 16, v1
	s_or_b32 s18, vcc_lo, s18
	global_store_b16 v[7:8], v1, off
	v_fmac_f32_e32 v3, v5, v5
	s_and_not1_b32 exec_lo, exec_lo, s18
	s_cbranch_execnz .LBB41_4
; %bb.5:
	s_set_inst_prefetch_distance 0x2
	s_or_b32 exec_lo, exec_lo, s18
	v_mov_b32_e32 v6, s15
.LBB41_6:
	s_or_b32 exec_lo, exec_lo, s16
	v_mbcnt_lo_u32_b32 v1, -1, 0
	v_and_b32_e32 v4, 0x3e0, v0
	s_mov_b32 s12, exec_lo
	s_delay_alu instid0(VALU_DEP_2) | instskip(NEXT) | instid1(VALU_DEP_2)
	v_cmp_ne_u32_e32 vcc_lo, 31, v1
	v_sub_nc_u32_e64 v13, v6, v4 clamp
	v_add_nc_u32_e32 v4, 1, v1
	v_add_co_ci_u32_e32 v2, vcc_lo, 0, v1, vcc_lo
	v_cmp_gt_u32_e32 vcc_lo, 30, v1
	s_delay_alu instid0(VALU_DEP_2)
	v_lshlrev_b32_e32 v2, 2, v2
	v_cndmask_b32_e64 v7, 0, 1, vcc_lo
	v_cmp_lt_u32_e32 vcc_lo, v4, v13
	ds_bpermute_b32 v5, v2, v3
	s_waitcnt lgkmcnt(0)
	v_dual_add_f32 v8, v3, v5 :: v_dual_lshlrev_b32 v7, 1, v7
	s_delay_alu instid0(VALU_DEP_1) | instskip(NEXT) | instid1(VALU_DEP_2)
	v_add_lshl_u32 v5, v7, v1, 2
	v_cndmask_b32_e32 v8, v3, v8, vcc_lo
	v_cmp_gt_u32_e32 vcc_lo, 28, v1
	v_cndmask_b32_e64 v3, 0, 1, vcc_lo
	s_delay_alu instid0(VALU_DEP_1) | instskip(SKIP_3) | instid1(VALU_DEP_1)
	v_lshlrev_b32_e32 v9, 2, v3
	ds_bpermute_b32 v7, v5, v8
	s_waitcnt lgkmcnt(0)
	v_dual_add_f32 v10, v8, v7 :: v_dual_add_nc_u32 v3, 2, v1
	v_cmp_lt_u32_e32 vcc_lo, v3, v13
	v_add_lshl_u32 v7, v9, v1, 2
	s_delay_alu instid0(VALU_DEP_3) | instskip(SKIP_2) | instid1(VALU_DEP_1)
	v_cndmask_b32_e32 v10, v8, v10, vcc_lo
	v_cmp_gt_u32_e32 vcc_lo, 24, v1
	v_cndmask_b32_e64 v8, 0, 1, vcc_lo
	v_lshlrev_b32_e32 v11, 3, v8
	ds_bpermute_b32 v9, v7, v10
	v_add_nc_u32_e32 v8, 4, v1
	s_delay_alu instid0(VALU_DEP_1) | instskip(SKIP_3) | instid1(VALU_DEP_2)
	v_cmp_lt_u32_e32 vcc_lo, v8, v13
	s_waitcnt lgkmcnt(0)
	v_add_f32_e32 v12, v10, v9
	v_add_lshl_u32 v9, v11, v1, 2
	v_cndmask_b32_e32 v12, v10, v12, vcc_lo
	v_cmp_gt_u32_e32 vcc_lo, 16, v1
	ds_bpermute_b32 v11, v9, v12
	v_cndmask_b32_e64 v10, 0, 1, vcc_lo
	s_delay_alu instid0(VALU_DEP_1) | instskip(SKIP_1) | instid1(VALU_DEP_1)
	v_lshlrev_b32_e32 v14, 4, v10
	v_add_nc_u32_e32 v10, 8, v1
	v_cmp_lt_u32_e32 vcc_lo, v10, v13
	s_waitcnt lgkmcnt(0)
	v_add_f32_e32 v15, v12, v11
	v_add_lshl_u32 v11, v14, v1, 2
	s_delay_alu instid0(VALU_DEP_2)
	v_cndmask_b32_e32 v14, v12, v15, vcc_lo
	v_add_nc_u32_e32 v12, 16, v1
	ds_bpermute_b32 v15, v11, v14
	v_cmp_lt_u32_e32 vcc_lo, v12, v13
	s_waitcnt lgkmcnt(0)
	v_add_f32_e32 v15, v14, v15
	s_delay_alu instid0(VALU_DEP_1)
	v_cndmask_b32_e32 v13, v14, v15, vcc_lo
	v_cmpx_eq_u32_e32 0, v1
	s_cbranch_execz .LBB41_8
; %bb.7:
	v_lshrrev_b32_e32 v14, 3, v0
	s_delay_alu instid0(VALU_DEP_1)
	v_and_b32_e32 v14, 0x7c, v14
	ds_store_b32 v14, v13
.LBB41_8:
	s_or_b32 exec_lo, exec_lo, s12
	s_delay_alu instid0(SALU_CYCLE_1)
	s_mov_b32 s12, exec_lo
	s_waitcnt lgkmcnt(0)
	s_waitcnt_vscnt null, 0x0
	s_barrier
	buffer_gl0_inv
	v_cmpx_gt_u32_e32 32, v0
	s_cbranch_execz .LBB41_10
; %bb.9:
	v_lshlrev_b32_e32 v1, 2, v1
	v_add_nc_u32_e32 v13, 31, v6
	ds_load_b32 v1, v1
	v_lshrrev_b32_e32 v13, 5, v13
	s_delay_alu instid0(VALU_DEP_1) | instskip(SKIP_4) | instid1(VALU_DEP_1)
	v_cmp_lt_u32_e32 vcc_lo, v4, v13
	s_waitcnt lgkmcnt(0)
	ds_bpermute_b32 v2, v2, v1
	s_waitcnt lgkmcnt(0)
	v_add_f32_e32 v2, v1, v2
	v_cndmask_b32_e32 v1, v1, v2, vcc_lo
	v_cmp_lt_u32_e32 vcc_lo, v3, v13
	ds_bpermute_b32 v2, v5, v1
	s_waitcnt lgkmcnt(0)
	v_add_f32_e32 v2, v1, v2
	s_delay_alu instid0(VALU_DEP_1) | instskip(SKIP_4) | instid1(VALU_DEP_1)
	v_cndmask_b32_e32 v1, v1, v2, vcc_lo
	v_cmp_lt_u32_e32 vcc_lo, v8, v13
	ds_bpermute_b32 v2, v7, v1
	s_waitcnt lgkmcnt(0)
	v_add_f32_e32 v2, v1, v2
	v_cndmask_b32_e32 v1, v1, v2, vcc_lo
	v_cmp_lt_u32_e32 vcc_lo, v10, v13
	ds_bpermute_b32 v2, v9, v1
	s_waitcnt lgkmcnt(0)
	v_add_f32_e32 v2, v1, v2
	s_delay_alu instid0(VALU_DEP_1) | instskip(SKIP_4) | instid1(VALU_DEP_1)
	v_cndmask_b32_e32 v1, v1, v2, vcc_lo
	v_cmp_lt_u32_e32 vcc_lo, v12, v13
	ds_bpermute_b32 v2, v11, v1
	s_waitcnt lgkmcnt(0)
	v_add_f32_e32 v2, v1, v2
	v_cndmask_b32_e32 v13, v1, v2, vcc_lo
.LBB41_10:
	s_or_b32 exec_lo, exec_lo, s12
	s_delay_alu instid0(SALU_CYCLE_1)
	s_mov_b32 s12, exec_lo
	v_cmpx_eq_u32_e32 0, v0
	s_cbranch_execz .LBB41_12
; %bb.11:
	v_cvt_f32_i32_e32 v1, s3
	s_load_b32 s0, s[0:1], 0x30
	s_delay_alu instid0(VALU_DEP_1) | instskip(SKIP_1) | instid1(VALU_DEP_2)
	v_div_scale_f32 v2, null, v1, v1, v13
	v_div_scale_f32 v5, vcc_lo, v13, v1, v13
	v_rcp_f32_e32 v3, v2
	s_waitcnt_depctr 0xfff
	v_fma_f32 v4, -v2, v3, 1.0
	s_delay_alu instid0(VALU_DEP_1) | instskip(NEXT) | instid1(VALU_DEP_1)
	v_fmac_f32_e32 v3, v4, v3
	v_mul_f32_e32 v4, v5, v3
	s_delay_alu instid0(VALU_DEP_1) | instskip(NEXT) | instid1(VALU_DEP_1)
	v_fma_f32 v7, -v2, v4, v5
	v_fmac_f32_e32 v4, v7, v3
	s_delay_alu instid0(VALU_DEP_1) | instskip(NEXT) | instid1(VALU_DEP_1)
	v_fma_f32 v2, -v2, v4, v5
	v_div_fmas_f32 v2, v2, v3, v4
	s_delay_alu instid0(VALU_DEP_1) | instskip(SKIP_1) | instid1(VALU_DEP_1)
	v_div_fixup_f32 v1, v2, v1, v13
	s_waitcnt lgkmcnt(0)
	v_add_f32_e32 v1, s0, v1
	s_delay_alu instid0(VALU_DEP_1) | instskip(SKIP_1) | instid1(VALU_DEP_2)
	v_mul_f32_e32 v2, 0x4b800000, v1
	v_cmp_gt_f32_e32 vcc_lo, 0x800000, v1
	v_cndmask_b32_e32 v1, v1, v2, vcc_lo
	s_delay_alu instid0(VALU_DEP_1) | instskip(SKIP_2) | instid1(VALU_DEP_1)
	v_rsq_f32_e32 v1, v1
	s_waitcnt_depctr 0xfff
	v_mul_f32_e32 v2, 0x45800000, v1
	v_dual_cndmask_b32 v1, v1, v2 :: v_dual_mov_b32 v2, 0
	ds_store_b32 v2, v1 offset:128
.LBB41_12:
	s_or_b32 exec_lo, exec_lo, s12
	s_waitcnt lgkmcnt(0)
	s_barrier
	buffer_gl0_inv
	s_and_saveexec_b32 s0, s2
	s_cbranch_execz .LBB41_25
; %bb.13:
	s_load_b32 s0, s[6:7], 0x0
	s_mov_b32 s2, 0
	s_mov_b32 s6, 0x43600000
	s_waitcnt lgkmcnt(0)
	v_div_scale_f32 v1, null, s0, s0, 1.0
	v_div_scale_f32 v4, vcc_lo, 1.0, s0, 1.0
	s_delay_alu instid0(VALU_DEP_2) | instskip(SKIP_2) | instid1(VALU_DEP_1)
	v_rcp_f32_e32 v2, v1
	s_waitcnt_depctr 0xfff
	v_fma_f32 v3, -v1, v2, 1.0
	v_dual_fmac_f32 v2, v3, v2 :: v_dual_mov_b32 v3, 0
	s_delay_alu instid0(VALU_DEP_1) | instskip(NEXT) | instid1(VALU_DEP_1)
	v_mul_f32_e32 v5, v4, v2
	v_fma_f32 v7, -v1, v5, v4
	s_delay_alu instid0(VALU_DEP_1) | instskip(SKIP_2) | instid1(VALU_DEP_1)
	v_fmac_f32_e32 v5, v7, v2
	ds_load_b32 v7, v3 offset:128
	v_fma_f32 v1, -v1, v5, v4
	v_div_fmas_f32 v1, v1, v2, v5
	s_delay_alu instid0(VALU_DEP_1)
	v_div_fixup_f32 v8, v1, s0, 1.0
	s_branch .LBB41_18
.LBB41_14:                              ;   in Loop: Header=BB41_18 Depth=1
	s_or_b32 exec_lo, exec_lo, s0
	s_delay_alu instid0(VALU_DEP_2) | instskip(NEXT) | instid1(VALU_DEP_2)
	v_lshrrev_b64 v[4:5], 20, v[4:5]
	v_cmp_gt_i32_e32 vcc_lo, 16, v9
	v_and_b32_e32 v1, 0x80, v1
	v_min_i32_e32 v10, 15, v9
	v_cmp_eq_u32_e64 s0, 0, v9
	v_dual_cndmask_b32 v4, 7, v4 :: v_dual_cndmask_b32 v5, 0, v5
	s_delay_alu instid0(VALU_DEP_3) | instskip(NEXT) | instid1(VALU_DEP_2)
	v_lshl_or_b32 v1, v10, 3, v1
	v_cmp_eq_u64_e32 vcc_lo, 0, v[4:5]
	s_delay_alu instid0(VALU_DEP_2)
	v_and_or_b32 v1, v4, 7, v1
	s_and_b32 s0, s0, vcc_lo
	s_delay_alu instid0(VALU_DEP_1) | instid1(SALU_CYCLE_1)
	v_cndmask_b32_e64 v4, v1, 0, s0
.LBB41_15:                              ;   in Loop: Header=BB41_18 Depth=1
	s_or_b32 exec_lo, exec_lo, s13
.LBB41_16:                              ;   in Loop: Header=BB41_18 Depth=1
	s_and_not1_saveexec_b32 s0, s12
	s_delay_alu instid0(SALU_CYCLE_1)
	s_or_b32 exec_lo, exec_lo, s0
.LBB41_17:                              ;   in Loop: Header=BB41_18 Depth=1
	s_and_not1_saveexec_b32 s0, s7
	s_delay_alu instid0(SALU_CYCLE_1) | instskip(SKIP_2) | instid1(VALU_DEP_1)
	s_or_b32 exec_lo, exec_lo, s0
	v_add_nc_u32_e32 v0, v0, v6
	v_add_co_u32 v1, s0, s10, v2
	v_add_co_ci_u32_e64 v2, null, s11, 0, s0
	s_delay_alu instid0(VALU_DEP_3) | instskip(SKIP_2) | instid1(SALU_CYCLE_1)
	v_cmp_le_i32_e32 vcc_lo, s3, v0
	global_store_b8 v[1:2], v4, off
	s_or_b32 s2, vcc_lo, s2
	s_and_not1_b32 exec_lo, exec_lo, s2
	s_cbranch_execz .LBB41_25
.LBB41_18:                              ; =>This Inner Loop Header: Depth=1
	v_add_nc_u32_e32 v2, s14, v0
	v_ashrrev_i32_e32 v1, 31, v0
	s_mov_b32 s0, exec_lo
	v_mov_b32_e32 v10, v3
	s_delay_alu instid0(VALU_DEP_3) | instskip(NEXT) | instid1(VALU_DEP_1)
	v_lshlrev_b64 v[4:5], 1, v[2:3]
	v_add_co_u32 v4, vcc_lo, s8, v4
	s_delay_alu instid0(VALU_DEP_2) | instskip(SKIP_2) | instid1(VALU_DEP_1)
	v_add_co_ci_u32_e32 v5, vcc_lo, s9, v5, vcc_lo
	global_load_u16 v9, v[4:5], off
	v_lshlrev_b64 v[4:5], 1, v[0:1]
	v_add_co_u32 v4, vcc_lo, s4, v4
	s_delay_alu instid0(VALU_DEP_2) | instskip(SKIP_4) | instid1(VALU_DEP_1)
	v_add_co_ci_u32_e32 v5, vcc_lo, s5, v5, vcc_lo
	global_load_u16 v1, v[4:5], off
	s_waitcnt vmcnt(1)
	v_lshlrev_b32_e32 v4, 16, v9
	s_waitcnt lgkmcnt(0)
	v_mul_f32_e32 v4, v7, v4
	s_delay_alu instid0(VALU_DEP_1) | instskip(SKIP_2) | instid1(VALU_DEP_2)
	v_bfe_u32 v5, v4, 16, 1
	s_waitcnt vmcnt(0)
	v_lshlrev_b32_e32 v1, 16, v1
	v_add3_u32 v5, v4, v5, 0x7fff
	s_delay_alu instid0(VALU_DEP_1) | instskip(SKIP_1) | instid1(VALU_DEP_2)
	v_and_b32_e32 v5, 0xffff0000, v5
	v_cmp_o_f32_e32 vcc_lo, v4, v4
	v_cndmask_b32_e32 v4, 0x7fc00000, v5, vcc_lo
	s_delay_alu instid0(VALU_DEP_1) | instskip(NEXT) | instid1(VALU_DEP_1)
	v_mul_f32_e32 v1, v4, v1
	v_bfe_u32 v4, v1, 16, 1
	v_cmp_o_f32_e32 vcc_lo, v1, v1
	s_delay_alu instid0(VALU_DEP_2) | instskip(NEXT) | instid1(VALU_DEP_1)
	v_add3_u32 v4, v1, v4, 0x7fff
	v_and_b32_e32 v4, 0xffff0000, v4
	s_delay_alu instid0(VALU_DEP_1) | instskip(NEXT) | instid1(VALU_DEP_1)
	v_cndmask_b32_e32 v1, 0x7fc00000, v4, vcc_lo
	v_mul_f32_e32 v1, v8, v1
	s_delay_alu instid0(VALU_DEP_1) | instskip(NEXT) | instid1(VALU_DEP_1)
	v_minmax_f32 v5, v1, s6, 0xc3600000
	v_lshrrev_b32_e32 v1, 24, v5
	v_and_b32_e32 v9, 0x7f800000, v5
	s_delay_alu instid0(VALU_DEP_2) | instskip(NEXT) | instid1(VALU_DEP_2)
	v_or_b32_e32 v4, 0x7f, v1
	v_cmpx_ne_u64_e32 0x7f800000, v[9:10]
	s_xor_b32 s7, exec_lo, s0
	s_cbranch_execz .LBB41_17
; %bb.19:                               ;   in Loop: Header=BB41_18 Depth=1
	v_dual_mov_b32 v10, v3 :: v_dual_and_b32 v9, 0x7fffffff, v5
	s_mov_b32 s0, exec_lo
	s_delay_alu instid0(VALU_DEP_1)
	v_cmpx_gt_u64_e32 0x43700001, v[9:10]
	s_xor_b32 s12, exec_lo, s0
	s_cbranch_execz .LBB41_16
; %bb.20:                               ;   in Loop: Header=BB41_18 Depth=1
	v_mov_b32_e32 v4, 0
	s_mov_b32 s13, exec_lo
	v_cmpx_ne_u32_e32 0, v5
	s_cbranch_execz .LBB41_15
; %bb.21:                               ;   in Loop: Header=BB41_18 Depth=1
	v_bfe_u32 v11, v5, 23, 8
	v_and_b32_e32 v9, 0x7fffff, v5
	v_mov_b32_e32 v5, v3
	s_delay_alu instid0(VALU_DEP_3) | instskip(SKIP_2) | instid1(VALU_DEP_3)
	v_sub_nc_u32_e64 v4, 0x78, v11 clamp
	v_cmp_eq_u32_e32 vcc_lo, 0, v11
	v_add_nc_u32_e32 v11, 0xffffff89, v11
	v_cndmask_b32_e64 v16, v4, 0x77, vcc_lo
	v_or_b32_e32 v4, 0x800000, v9
	s_delay_alu instid0(VALU_DEP_2) | instskip(NEXT) | instid1(VALU_DEP_2)
	v_add_nc_u32_e32 v10, 20, v16
	v_cndmask_b32_e32 v4, v4, v9, vcc_lo
	v_add_nc_u32_e32 v14, 19, v16
	s_delay_alu instid0(VALU_DEP_3) | instskip(NEXT) | instid1(VALU_DEP_3)
	v_lshlrev_b64 v[9:10], v10, -1
	v_lshrrev_b64 v[12:13], v16, v[4:5]
	s_delay_alu instid0(VALU_DEP_3) | instskip(SKIP_1) | instid1(VALU_DEP_4)
	v_lshlrev_b64 v[14:15], v14, 1
	v_mov_b32_e32 v10, v3
	v_not_b32_e32 v17, v9
	s_delay_alu instid0(VALU_DEP_4) | instskip(NEXT) | instid1(VALU_DEP_2)
	v_and_b32_e32 v9, 0x100000, v12
	v_and_b32_e32 v4, v4, v17
	s_delay_alu instid0(VALU_DEP_2) | instskip(NEXT) | instid1(VALU_DEP_2)
	v_cmp_eq_u64_e64 s0, 0, v[9:10]
	v_cmp_eq_u64_e64 s1, v[4:5], v[14:15]
	v_cndmask_b32_e64 v4, v11, 0xffffff8a, vcc_lo
	v_lshrrev_b32_e32 v5, 23, v12
	s_delay_alu instid0(VALU_DEP_3) | instskip(NEXT) | instid1(VALU_DEP_1)
	s_and_b32 vcc_lo, s0, s1
	v_add3_u32 v10, v4, v16, v5
	v_subrev_co_ci_u32_e32 v9, vcc_lo, 0, v12, vcc_lo
	s_mov_b32 s0, exec_lo
	s_delay_alu instid0(VALU_DEP_2) | instskip(NEXT) | instid1(VALU_DEP_2)
	v_add_nc_u32_e32 v11, -1, v10
	v_and_b32_e32 v4, 0xfffff, v9
                                        ; implicit-def: $vgpr9
	s_delay_alu instid0(VALU_DEP_1) | instskip(SKIP_1) | instid1(VALU_DEP_4)
	v_add_co_u32 v4, vcc_lo, v4, v12
	v_add_co_ci_u32_e32 v5, vcc_lo, 0, v13, vcc_lo
	v_cmpx_ne_u32_e32 0, v11
	s_xor_b32 s0, exec_lo, s0
; %bb.22:                               ;   in Loop: Header=BB41_18 Depth=1
	s_delay_alu instid0(VALU_DEP_3) | instskip(SKIP_1) | instid1(VALU_DEP_2)
	v_dual_mov_b32 v13, v3 :: v_dual_and_b32 v12, 0x1000000, v4
	v_bfe_u32 v9, v4, 24, 1
	v_cmp_eq_u64_e32 vcc_lo, 0, v[12:13]
	s_delay_alu instid0(VALU_DEP_2)
	v_lshrrev_b64 v[4:5], v9, v[4:5]
	v_cndmask_b32_e32 v9, v10, v11, vcc_lo
; %bb.23:                               ;   in Loop: Header=BB41_18 Depth=1
	s_and_not1_saveexec_b32 s0, s0
	s_cbranch_execz .LBB41_14
; %bb.24:                               ;   in Loop: Header=BB41_18 Depth=1
	s_delay_alu instid0(VALU_DEP_2)
	v_bfe_u32 v9, v4, 23, 1
	s_branch .LBB41_14
.LBB41_25:
	s_nop 0
	s_sendmsg sendmsg(MSG_DEALLOC_VGPRS)
	s_endpgm
	.section	.rodata,"a",@progbits
	.p2align	6, 0x0
	.amdhsa_kernel _ZN4vllm42fused_add_rms_norm_static_fp8_quant_kernelIN3c108BFloat16ELi0ENS1_15Float8_e4m3fnuzEEENSt9enable_ifIXooeqT0_Li0Entsr12_typeConvertIT_EE6existsEvE4typeEPT1_PS5_iSA_PKS5_PKffii
		.amdhsa_group_segment_fixed_size 132
		.amdhsa_private_segment_fixed_size 0
		.amdhsa_kernarg_size 320
		.amdhsa_user_sgpr_count 15
		.amdhsa_user_sgpr_dispatch_ptr 0
		.amdhsa_user_sgpr_queue_ptr 0
		.amdhsa_user_sgpr_kernarg_segment_ptr 1
		.amdhsa_user_sgpr_dispatch_id 0
		.amdhsa_user_sgpr_private_segment_size 0
		.amdhsa_wavefront_size32 1
		.amdhsa_uses_dynamic_stack 0
		.amdhsa_enable_private_segment 0
		.amdhsa_system_sgpr_workgroup_id_x 1
		.amdhsa_system_sgpr_workgroup_id_y 0
		.amdhsa_system_sgpr_workgroup_id_z 0
		.amdhsa_system_sgpr_workgroup_info 0
		.amdhsa_system_vgpr_workitem_id 0
		.amdhsa_next_free_vgpr 18
		.amdhsa_next_free_sgpr 19
		.amdhsa_reserve_vcc 1
		.amdhsa_float_round_mode_32 0
		.amdhsa_float_round_mode_16_64 0
		.amdhsa_float_denorm_mode_32 3
		.amdhsa_float_denorm_mode_16_64 3
		.amdhsa_dx10_clamp 1
		.amdhsa_ieee_mode 1
		.amdhsa_fp16_overflow 0
		.amdhsa_workgroup_processor_mode 1
		.amdhsa_memory_ordered 1
		.amdhsa_forward_progress 0
		.amdhsa_shared_vgpr_count 0
		.amdhsa_exception_fp_ieee_invalid_op 0
		.amdhsa_exception_fp_denorm_src 0
		.amdhsa_exception_fp_ieee_div_zero 0
		.amdhsa_exception_fp_ieee_overflow 0
		.amdhsa_exception_fp_ieee_underflow 0
		.amdhsa_exception_fp_ieee_inexact 0
		.amdhsa_exception_int_div_zero 0
	.end_amdhsa_kernel
	.section	.text._ZN4vllm42fused_add_rms_norm_static_fp8_quant_kernelIN3c108BFloat16ELi0ENS1_15Float8_e4m3fnuzEEENSt9enable_ifIXooeqT0_Li0Entsr12_typeConvertIT_EE6existsEvE4typeEPT1_PS5_iSA_PKS5_PKffii,"axG",@progbits,_ZN4vllm42fused_add_rms_norm_static_fp8_quant_kernelIN3c108BFloat16ELi0ENS1_15Float8_e4m3fnuzEEENSt9enable_ifIXooeqT0_Li0Entsr12_typeConvertIT_EE6existsEvE4typeEPT1_PS5_iSA_PKS5_PKffii,comdat
.Lfunc_end41:
	.size	_ZN4vllm42fused_add_rms_norm_static_fp8_quant_kernelIN3c108BFloat16ELi0ENS1_15Float8_e4m3fnuzEEENSt9enable_ifIXooeqT0_Li0Entsr12_typeConvertIT_EE6existsEvE4typeEPT1_PS5_iSA_PKS5_PKffii, .Lfunc_end41-_ZN4vllm42fused_add_rms_norm_static_fp8_quant_kernelIN3c108BFloat16ELi0ENS1_15Float8_e4m3fnuzEEENSt9enable_ifIXooeqT0_Li0Entsr12_typeConvertIT_EE6existsEvE4typeEPT1_PS5_iSA_PKS5_PKffii
                                        ; -- End function
	.section	.AMDGPU.csdata,"",@progbits
; Kernel info:
; codeLenInByte = 2088
; NumSgprs: 21
; NumVgprs: 18
; ScratchSize: 0
; MemoryBound: 0
; FloatMode: 240
; IeeeMode: 1
; LDSByteSize: 132 bytes/workgroup (compile time only)
; SGPRBlocks: 2
; VGPRBlocks: 2
; NumSGPRsForWavesPerEU: 21
; NumVGPRsForWavesPerEU: 18
; Occupancy: 16
; WaveLimiterHint : 0
; COMPUTE_PGM_RSRC2:SCRATCH_EN: 0
; COMPUTE_PGM_RSRC2:USER_SGPR: 15
; COMPUTE_PGM_RSRC2:TRAP_HANDLER: 0
; COMPUTE_PGM_RSRC2:TGID_X_EN: 1
; COMPUTE_PGM_RSRC2:TGID_Y_EN: 0
; COMPUTE_PGM_RSRC2:TGID_Z_EN: 0
; COMPUTE_PGM_RSRC2:TIDIG_COMP_CNT: 0
	.text
	.p2alignl 7, 3214868480
	.fill 96, 4, 3214868480
	.type	__hip_cuid_87762647b731d99e,@object ; @__hip_cuid_87762647b731d99e
	.section	.bss,"aw",@nobits
	.globl	__hip_cuid_87762647b731d99e
__hip_cuid_87762647b731d99e:
	.byte	0                               ; 0x0
	.size	__hip_cuid_87762647b731d99e, 1

	.ident	"AMD clang version 19.0.0git (https://github.com/RadeonOpenCompute/llvm-project roc-6.4.0 25133 c7fe45cf4b819c5991fe208aaa96edf142730f1d)"
	.section	".note.GNU-stack","",@progbits
	.addrsig
	.addrsig_sym __hip_cuid_87762647b731d99e
	.amdgpu_metadata
---
amdhsa.kernels:
  - .args:
      - .actual_access:  write_only
        .address_space:  global
        .offset:         0
        .size:           8
        .value_kind:     global_buffer
      - .address_space:  global
        .offset:         8
        .size:           8
        .value_kind:     global_buffer
      - .offset:         16
        .size:           4
        .value_kind:     by_value
      - .actual_access:  read_only
        .address_space:  global
        .offset:         24
        .size:           8
        .value_kind:     global_buffer
      - .actual_access:  read_only
        .address_space:  global
        .offset:         32
        .size:           8
        .value_kind:     global_buffer
      - .offset:         40
        .size:           4
        .value_kind:     by_value
      - .offset:         44
        .size:           4
        .value_kind:     by_value
      - .offset:         48
        .size:           4
        .value_kind:     by_value
      - .offset:         56
        .size:           4
        .value_kind:     hidden_block_count_x
      - .offset:         60
        .size:           4
        .value_kind:     hidden_block_count_y
      - .offset:         64
        .size:           4
        .value_kind:     hidden_block_count_z
      - .offset:         68
        .size:           2
        .value_kind:     hidden_group_size_x
      - .offset:         70
        .size:           2
        .value_kind:     hidden_group_size_y
      - .offset:         72
        .size:           2
        .value_kind:     hidden_group_size_z
      - .offset:         74
        .size:           2
        .value_kind:     hidden_remainder_x
      - .offset:         76
        .size:           2
        .value_kind:     hidden_remainder_y
      - .offset:         78
        .size:           2
        .value_kind:     hidden_remainder_z
      - .offset:         96
        .size:           8
        .value_kind:     hidden_global_offset_x
      - .offset:         104
        .size:           8
        .value_kind:     hidden_global_offset_y
      - .offset:         112
        .size:           8
        .value_kind:     hidden_global_offset_z
      - .offset:         120
        .size:           2
        .value_kind:     hidden_grid_dims
    .group_segment_fixed_size: 132
    .kernarg_segment_align: 8
    .kernarg_segment_size: 312
    .language:       OpenCL C
    .language_version:
      - 2
      - 0
    .max_flat_workgroup_size: 1024
    .name:           _ZN4vllm32rms_norm_static_fp8_quant_kernelIfN3c1013Float8_e4m3fnELi16EEEvPT0_PKT_iS7_PKffii
    .private_segment_fixed_size: 0
    .sgpr_count:     22
    .sgpr_spill_count: 0
    .symbol:         _ZN4vllm32rms_norm_static_fp8_quant_kernelIfN3c1013Float8_e4m3fnELi16EEEvPT0_PKT_iS7_PKffii.kd
    .uniform_work_group_size: 1
    .uses_dynamic_stack: false
    .vgpr_count:     47
    .vgpr_spill_count: 0
    .wavefront_size: 32
    .workgroup_processor_mode: 1
  - .args:
      - .actual_access:  write_only
        .address_space:  global
        .offset:         0
        .size:           8
        .value_kind:     global_buffer
      - .address_space:  global
        .offset:         8
        .size:           8
        .value_kind:     global_buffer
      - .offset:         16
        .size:           4
        .value_kind:     by_value
      - .actual_access:  read_only
        .address_space:  global
        .offset:         24
        .size:           8
        .value_kind:     global_buffer
      - .actual_access:  read_only
        .address_space:  global
        .offset:         32
        .size:           8
        .value_kind:     global_buffer
      - .offset:         40
        .size:           4
        .value_kind:     by_value
      - .offset:         44
        .size:           4
        .value_kind:     by_value
      - .offset:         48
        .size:           4
        .value_kind:     by_value
      - .offset:         56
        .size:           4
        .value_kind:     hidden_block_count_x
      - .offset:         60
        .size:           4
        .value_kind:     hidden_block_count_y
      - .offset:         64
        .size:           4
        .value_kind:     hidden_block_count_z
      - .offset:         68
        .size:           2
        .value_kind:     hidden_group_size_x
      - .offset:         70
        .size:           2
        .value_kind:     hidden_group_size_y
      - .offset:         72
        .size:           2
        .value_kind:     hidden_group_size_z
      - .offset:         74
        .size:           2
        .value_kind:     hidden_remainder_x
      - .offset:         76
        .size:           2
        .value_kind:     hidden_remainder_y
      - .offset:         78
        .size:           2
        .value_kind:     hidden_remainder_z
      - .offset:         96
        .size:           8
        .value_kind:     hidden_global_offset_x
      - .offset:         104
        .size:           8
        .value_kind:     hidden_global_offset_y
      - .offset:         112
        .size:           8
        .value_kind:     hidden_global_offset_z
      - .offset:         120
        .size:           2
        .value_kind:     hidden_grid_dims
    .group_segment_fixed_size: 132
    .kernarg_segment_align: 8
    .kernarg_segment_size: 312
    .language:       OpenCL C
    .language_version:
      - 2
      - 0
    .max_flat_workgroup_size: 1024
    .name:           _ZN4vllm32rms_norm_static_fp8_quant_kernelIfN3c1013Float8_e4m3fnELi8EEEvPT0_PKT_iS7_PKffii
    .private_segment_fixed_size: 0
    .sgpr_count:     22
    .sgpr_spill_count: 0
    .symbol:         _ZN4vllm32rms_norm_static_fp8_quant_kernelIfN3c1013Float8_e4m3fnELi8EEEvPT0_PKT_iS7_PKffii.kd
    .uniform_work_group_size: 1
    .uses_dynamic_stack: false
    .vgpr_count:     31
    .vgpr_spill_count: 0
    .wavefront_size: 32
    .workgroup_processor_mode: 1
  - .args:
      - .actual_access:  write_only
        .address_space:  global
        .offset:         0
        .size:           8
        .value_kind:     global_buffer
      - .address_space:  global
        .offset:         8
        .size:           8
        .value_kind:     global_buffer
      - .offset:         16
        .size:           4
        .value_kind:     by_value
      - .actual_access:  read_only
        .address_space:  global
        .offset:         24
        .size:           8
        .value_kind:     global_buffer
      - .actual_access:  read_only
        .address_space:  global
        .offset:         32
        .size:           8
        .value_kind:     global_buffer
      - .offset:         40
        .size:           4
        .value_kind:     by_value
      - .offset:         44
        .size:           4
        .value_kind:     by_value
      - .offset:         48
        .size:           4
        .value_kind:     by_value
      - .offset:         56
        .size:           4
        .value_kind:     hidden_block_count_x
      - .offset:         60
        .size:           4
        .value_kind:     hidden_block_count_y
      - .offset:         64
        .size:           4
        .value_kind:     hidden_block_count_z
      - .offset:         68
        .size:           2
        .value_kind:     hidden_group_size_x
      - .offset:         70
        .size:           2
        .value_kind:     hidden_group_size_y
      - .offset:         72
        .size:           2
        .value_kind:     hidden_group_size_z
      - .offset:         74
        .size:           2
        .value_kind:     hidden_remainder_x
      - .offset:         76
        .size:           2
        .value_kind:     hidden_remainder_y
      - .offset:         78
        .size:           2
        .value_kind:     hidden_remainder_z
      - .offset:         96
        .size:           8
        .value_kind:     hidden_global_offset_x
      - .offset:         104
        .size:           8
        .value_kind:     hidden_global_offset_y
      - .offset:         112
        .size:           8
        .value_kind:     hidden_global_offset_z
      - .offset:         120
        .size:           2
        .value_kind:     hidden_grid_dims
    .group_segment_fixed_size: 132
    .kernarg_segment_align: 8
    .kernarg_segment_size: 312
    .language:       OpenCL C
    .language_version:
      - 2
      - 0
    .max_flat_workgroup_size: 1024
    .name:           _ZN4vllm32rms_norm_static_fp8_quant_kernelIfN3c1013Float8_e4m3fnELi4EEEvPT0_PKT_iS7_PKffii
    .private_segment_fixed_size: 0
    .sgpr_count:     22
    .sgpr_spill_count: 0
    .symbol:         _ZN4vllm32rms_norm_static_fp8_quant_kernelIfN3c1013Float8_e4m3fnELi4EEEvPT0_PKT_iS7_PKffii.kd
    .uniform_work_group_size: 1
    .uses_dynamic_stack: false
    .vgpr_count:     24
    .vgpr_spill_count: 0
    .wavefront_size: 32
    .workgroup_processor_mode: 1
  - .args:
      - .actual_access:  write_only
        .address_space:  global
        .offset:         0
        .size:           8
        .value_kind:     global_buffer
      - .address_space:  global
        .offset:         8
        .size:           8
        .value_kind:     global_buffer
      - .offset:         16
        .size:           4
        .value_kind:     by_value
      - .actual_access:  read_only
        .address_space:  global
        .offset:         24
        .size:           8
        .value_kind:     global_buffer
      - .actual_access:  read_only
        .address_space:  global
        .offset:         32
        .size:           8
        .value_kind:     global_buffer
      - .offset:         40
        .size:           4
        .value_kind:     by_value
      - .offset:         44
        .size:           4
        .value_kind:     by_value
      - .offset:         48
        .size:           4
        .value_kind:     by_value
      - .offset:         56
        .size:           4
        .value_kind:     hidden_block_count_x
      - .offset:         60
        .size:           4
        .value_kind:     hidden_block_count_y
      - .offset:         64
        .size:           4
        .value_kind:     hidden_block_count_z
      - .offset:         68
        .size:           2
        .value_kind:     hidden_group_size_x
      - .offset:         70
        .size:           2
        .value_kind:     hidden_group_size_y
      - .offset:         72
        .size:           2
        .value_kind:     hidden_group_size_z
      - .offset:         74
        .size:           2
        .value_kind:     hidden_remainder_x
      - .offset:         76
        .size:           2
        .value_kind:     hidden_remainder_y
      - .offset:         78
        .size:           2
        .value_kind:     hidden_remainder_z
      - .offset:         96
        .size:           8
        .value_kind:     hidden_global_offset_x
      - .offset:         104
        .size:           8
        .value_kind:     hidden_global_offset_y
      - .offset:         112
        .size:           8
        .value_kind:     hidden_global_offset_z
      - .offset:         120
        .size:           2
        .value_kind:     hidden_grid_dims
    .group_segment_fixed_size: 132
    .kernarg_segment_align: 8
    .kernarg_segment_size: 312
    .language:       OpenCL C
    .language_version:
      - 2
      - 0
    .max_flat_workgroup_size: 1024
    .name:           _ZN4vllm32rms_norm_static_fp8_quant_kernelIfN3c1013Float8_e4m3fnELi2EEEvPT0_PKT_iS7_PKffii
    .private_segment_fixed_size: 0
    .sgpr_count:     22
    .sgpr_spill_count: 0
    .symbol:         _ZN4vllm32rms_norm_static_fp8_quant_kernelIfN3c1013Float8_e4m3fnELi2EEEvPT0_PKT_iS7_PKffii.kd
    .uniform_work_group_size: 1
    .uses_dynamic_stack: false
    .vgpr_count:     20
    .vgpr_spill_count: 0
    .wavefront_size: 32
    .workgroup_processor_mode: 1
  - .args:
      - .actual_access:  write_only
        .address_space:  global
        .offset:         0
        .size:           8
        .value_kind:     global_buffer
      - .address_space:  global
        .offset:         8
        .size:           8
        .value_kind:     global_buffer
      - .offset:         16
        .size:           4
        .value_kind:     by_value
      - .actual_access:  read_only
        .address_space:  global
        .offset:         24
        .size:           8
        .value_kind:     global_buffer
      - .actual_access:  read_only
        .address_space:  global
        .offset:         32
        .size:           8
        .value_kind:     global_buffer
      - .offset:         40
        .size:           4
        .value_kind:     by_value
      - .offset:         44
        .size:           4
        .value_kind:     by_value
      - .offset:         48
        .size:           4
        .value_kind:     by_value
      - .offset:         56
        .size:           4
        .value_kind:     hidden_block_count_x
      - .offset:         60
        .size:           4
        .value_kind:     hidden_block_count_y
      - .offset:         64
        .size:           4
        .value_kind:     hidden_block_count_z
      - .offset:         68
        .size:           2
        .value_kind:     hidden_group_size_x
      - .offset:         70
        .size:           2
        .value_kind:     hidden_group_size_y
      - .offset:         72
        .size:           2
        .value_kind:     hidden_group_size_z
      - .offset:         74
        .size:           2
        .value_kind:     hidden_remainder_x
      - .offset:         76
        .size:           2
        .value_kind:     hidden_remainder_y
      - .offset:         78
        .size:           2
        .value_kind:     hidden_remainder_z
      - .offset:         96
        .size:           8
        .value_kind:     hidden_global_offset_x
      - .offset:         104
        .size:           8
        .value_kind:     hidden_global_offset_y
      - .offset:         112
        .size:           8
        .value_kind:     hidden_global_offset_z
      - .offset:         120
        .size:           2
        .value_kind:     hidden_grid_dims
    .group_segment_fixed_size: 132
    .kernarg_segment_align: 8
    .kernarg_segment_size: 312
    .language:       OpenCL C
    .language_version:
      - 2
      - 0
    .max_flat_workgroup_size: 1024
    .name:           _ZN4vllm32rms_norm_static_fp8_quant_kernelIfN3c1013Float8_e4m3fnELi1EEEvPT0_PKT_iS7_PKffii
    .private_segment_fixed_size: 0
    .sgpr_count:     19
    .sgpr_spill_count: 0
    .symbol:         _ZN4vllm32rms_norm_static_fp8_quant_kernelIfN3c1013Float8_e4m3fnELi1EEEvPT0_PKT_iS7_PKffii.kd
    .uniform_work_group_size: 1
    .uses_dynamic_stack: false
    .vgpr_count:     15
    .vgpr_spill_count: 0
    .wavefront_size: 32
    .workgroup_processor_mode: 1
  - .args:
      - .actual_access:  write_only
        .address_space:  global
        .offset:         0
        .size:           8
        .value_kind:     global_buffer
      - .address_space:  global
        .offset:         8
        .size:           8
        .value_kind:     global_buffer
      - .offset:         16
        .size:           4
        .value_kind:     by_value
      - .actual_access:  read_only
        .address_space:  global
        .offset:         24
        .size:           8
        .value_kind:     global_buffer
      - .actual_access:  read_only
        .address_space:  global
        .offset:         32
        .size:           8
        .value_kind:     global_buffer
      - .offset:         40
        .size:           4
        .value_kind:     by_value
      - .offset:         44
        .size:           4
        .value_kind:     by_value
      - .offset:         48
        .size:           4
        .value_kind:     by_value
      - .offset:         56
        .size:           4
        .value_kind:     hidden_block_count_x
      - .offset:         60
        .size:           4
        .value_kind:     hidden_block_count_y
      - .offset:         64
        .size:           4
        .value_kind:     hidden_block_count_z
      - .offset:         68
        .size:           2
        .value_kind:     hidden_group_size_x
      - .offset:         70
        .size:           2
        .value_kind:     hidden_group_size_y
      - .offset:         72
        .size:           2
        .value_kind:     hidden_group_size_z
      - .offset:         74
        .size:           2
        .value_kind:     hidden_remainder_x
      - .offset:         76
        .size:           2
        .value_kind:     hidden_remainder_y
      - .offset:         78
        .size:           2
        .value_kind:     hidden_remainder_z
      - .offset:         96
        .size:           8
        .value_kind:     hidden_global_offset_x
      - .offset:         104
        .size:           8
        .value_kind:     hidden_global_offset_y
      - .offset:         112
        .size:           8
        .value_kind:     hidden_global_offset_z
      - .offset:         120
        .size:           2
        .value_kind:     hidden_grid_dims
    .group_segment_fixed_size: 132
    .kernarg_segment_align: 8
    .kernarg_segment_size: 312
    .language:       OpenCL C
    .language_version:
      - 2
      - 0
    .max_flat_workgroup_size: 1024
    .name:           _ZN4vllm32rms_norm_static_fp8_quant_kernelIfN3c1015Float8_e4m3fnuzELi16EEEvPT0_PKT_iS7_PKffii
    .private_segment_fixed_size: 0
    .sgpr_count:     22
    .sgpr_spill_count: 0
    .symbol:         _ZN4vllm32rms_norm_static_fp8_quant_kernelIfN3c1015Float8_e4m3fnuzELi16EEEvPT0_PKT_iS7_PKffii.kd
    .uniform_work_group_size: 1
    .uses_dynamic_stack: false
    .vgpr_count:     47
    .vgpr_spill_count: 0
    .wavefront_size: 32
    .workgroup_processor_mode: 1
  - .args:
      - .actual_access:  write_only
        .address_space:  global
        .offset:         0
        .size:           8
        .value_kind:     global_buffer
      - .address_space:  global
        .offset:         8
        .size:           8
        .value_kind:     global_buffer
      - .offset:         16
        .size:           4
        .value_kind:     by_value
      - .actual_access:  read_only
        .address_space:  global
        .offset:         24
        .size:           8
        .value_kind:     global_buffer
      - .actual_access:  read_only
        .address_space:  global
        .offset:         32
        .size:           8
        .value_kind:     global_buffer
      - .offset:         40
        .size:           4
        .value_kind:     by_value
      - .offset:         44
        .size:           4
        .value_kind:     by_value
      - .offset:         48
        .size:           4
        .value_kind:     by_value
      - .offset:         56
        .size:           4
        .value_kind:     hidden_block_count_x
      - .offset:         60
        .size:           4
        .value_kind:     hidden_block_count_y
      - .offset:         64
        .size:           4
        .value_kind:     hidden_block_count_z
      - .offset:         68
        .size:           2
        .value_kind:     hidden_group_size_x
      - .offset:         70
        .size:           2
        .value_kind:     hidden_group_size_y
      - .offset:         72
        .size:           2
        .value_kind:     hidden_group_size_z
      - .offset:         74
        .size:           2
        .value_kind:     hidden_remainder_x
      - .offset:         76
        .size:           2
        .value_kind:     hidden_remainder_y
      - .offset:         78
        .size:           2
        .value_kind:     hidden_remainder_z
      - .offset:         96
        .size:           8
        .value_kind:     hidden_global_offset_x
      - .offset:         104
        .size:           8
        .value_kind:     hidden_global_offset_y
      - .offset:         112
        .size:           8
        .value_kind:     hidden_global_offset_z
      - .offset:         120
        .size:           2
        .value_kind:     hidden_grid_dims
    .group_segment_fixed_size: 132
    .kernarg_segment_align: 8
    .kernarg_segment_size: 312
    .language:       OpenCL C
    .language_version:
      - 2
      - 0
    .max_flat_workgroup_size: 1024
    .name:           _ZN4vllm32rms_norm_static_fp8_quant_kernelIfN3c1015Float8_e4m3fnuzELi8EEEvPT0_PKT_iS7_PKffii
    .private_segment_fixed_size: 0
    .sgpr_count:     22
    .sgpr_spill_count: 0
    .symbol:         _ZN4vllm32rms_norm_static_fp8_quant_kernelIfN3c1015Float8_e4m3fnuzELi8EEEvPT0_PKT_iS7_PKffii.kd
    .uniform_work_group_size: 1
    .uses_dynamic_stack: false
    .vgpr_count:     31
    .vgpr_spill_count: 0
    .wavefront_size: 32
    .workgroup_processor_mode: 1
  - .args:
      - .actual_access:  write_only
        .address_space:  global
        .offset:         0
        .size:           8
        .value_kind:     global_buffer
      - .address_space:  global
        .offset:         8
        .size:           8
        .value_kind:     global_buffer
      - .offset:         16
        .size:           4
        .value_kind:     by_value
      - .actual_access:  read_only
        .address_space:  global
        .offset:         24
        .size:           8
        .value_kind:     global_buffer
      - .actual_access:  read_only
        .address_space:  global
        .offset:         32
        .size:           8
        .value_kind:     global_buffer
      - .offset:         40
        .size:           4
        .value_kind:     by_value
      - .offset:         44
        .size:           4
        .value_kind:     by_value
      - .offset:         48
        .size:           4
        .value_kind:     by_value
      - .offset:         56
        .size:           4
        .value_kind:     hidden_block_count_x
      - .offset:         60
        .size:           4
        .value_kind:     hidden_block_count_y
      - .offset:         64
        .size:           4
        .value_kind:     hidden_block_count_z
      - .offset:         68
        .size:           2
        .value_kind:     hidden_group_size_x
      - .offset:         70
        .size:           2
        .value_kind:     hidden_group_size_y
      - .offset:         72
        .size:           2
        .value_kind:     hidden_group_size_z
      - .offset:         74
        .size:           2
        .value_kind:     hidden_remainder_x
      - .offset:         76
        .size:           2
        .value_kind:     hidden_remainder_y
      - .offset:         78
        .size:           2
        .value_kind:     hidden_remainder_z
      - .offset:         96
        .size:           8
        .value_kind:     hidden_global_offset_x
      - .offset:         104
        .size:           8
        .value_kind:     hidden_global_offset_y
      - .offset:         112
        .size:           8
        .value_kind:     hidden_global_offset_z
      - .offset:         120
        .size:           2
        .value_kind:     hidden_grid_dims
    .group_segment_fixed_size: 132
    .kernarg_segment_align: 8
    .kernarg_segment_size: 312
    .language:       OpenCL C
    .language_version:
      - 2
      - 0
    .max_flat_workgroup_size: 1024
    .name:           _ZN4vllm32rms_norm_static_fp8_quant_kernelIfN3c1015Float8_e4m3fnuzELi4EEEvPT0_PKT_iS7_PKffii
    .private_segment_fixed_size: 0
    .sgpr_count:     22
    .sgpr_spill_count: 0
    .symbol:         _ZN4vllm32rms_norm_static_fp8_quant_kernelIfN3c1015Float8_e4m3fnuzELi4EEEvPT0_PKT_iS7_PKffii.kd
    .uniform_work_group_size: 1
    .uses_dynamic_stack: false
    .vgpr_count:     24
    .vgpr_spill_count: 0
    .wavefront_size: 32
    .workgroup_processor_mode: 1
  - .args:
      - .actual_access:  write_only
        .address_space:  global
        .offset:         0
        .size:           8
        .value_kind:     global_buffer
      - .address_space:  global
        .offset:         8
        .size:           8
        .value_kind:     global_buffer
      - .offset:         16
        .size:           4
        .value_kind:     by_value
      - .actual_access:  read_only
        .address_space:  global
        .offset:         24
        .size:           8
        .value_kind:     global_buffer
      - .actual_access:  read_only
        .address_space:  global
        .offset:         32
        .size:           8
        .value_kind:     global_buffer
      - .offset:         40
        .size:           4
        .value_kind:     by_value
      - .offset:         44
        .size:           4
        .value_kind:     by_value
      - .offset:         48
        .size:           4
        .value_kind:     by_value
      - .offset:         56
        .size:           4
        .value_kind:     hidden_block_count_x
      - .offset:         60
        .size:           4
        .value_kind:     hidden_block_count_y
      - .offset:         64
        .size:           4
        .value_kind:     hidden_block_count_z
      - .offset:         68
        .size:           2
        .value_kind:     hidden_group_size_x
      - .offset:         70
        .size:           2
        .value_kind:     hidden_group_size_y
      - .offset:         72
        .size:           2
        .value_kind:     hidden_group_size_z
      - .offset:         74
        .size:           2
        .value_kind:     hidden_remainder_x
      - .offset:         76
        .size:           2
        .value_kind:     hidden_remainder_y
      - .offset:         78
        .size:           2
        .value_kind:     hidden_remainder_z
      - .offset:         96
        .size:           8
        .value_kind:     hidden_global_offset_x
      - .offset:         104
        .size:           8
        .value_kind:     hidden_global_offset_y
      - .offset:         112
        .size:           8
        .value_kind:     hidden_global_offset_z
      - .offset:         120
        .size:           2
        .value_kind:     hidden_grid_dims
    .group_segment_fixed_size: 132
    .kernarg_segment_align: 8
    .kernarg_segment_size: 312
    .language:       OpenCL C
    .language_version:
      - 2
      - 0
    .max_flat_workgroup_size: 1024
    .name:           _ZN4vllm32rms_norm_static_fp8_quant_kernelIfN3c1015Float8_e4m3fnuzELi2EEEvPT0_PKT_iS7_PKffii
    .private_segment_fixed_size: 0
    .sgpr_count:     22
    .sgpr_spill_count: 0
    .symbol:         _ZN4vllm32rms_norm_static_fp8_quant_kernelIfN3c1015Float8_e4m3fnuzELi2EEEvPT0_PKT_iS7_PKffii.kd
    .uniform_work_group_size: 1
    .uses_dynamic_stack: false
    .vgpr_count:     20
    .vgpr_spill_count: 0
    .wavefront_size: 32
    .workgroup_processor_mode: 1
  - .args:
      - .actual_access:  write_only
        .address_space:  global
        .offset:         0
        .size:           8
        .value_kind:     global_buffer
      - .address_space:  global
        .offset:         8
        .size:           8
        .value_kind:     global_buffer
      - .offset:         16
        .size:           4
        .value_kind:     by_value
      - .actual_access:  read_only
        .address_space:  global
        .offset:         24
        .size:           8
        .value_kind:     global_buffer
      - .actual_access:  read_only
        .address_space:  global
        .offset:         32
        .size:           8
        .value_kind:     global_buffer
      - .offset:         40
        .size:           4
        .value_kind:     by_value
      - .offset:         44
        .size:           4
        .value_kind:     by_value
      - .offset:         48
        .size:           4
        .value_kind:     by_value
      - .offset:         56
        .size:           4
        .value_kind:     hidden_block_count_x
      - .offset:         60
        .size:           4
        .value_kind:     hidden_block_count_y
      - .offset:         64
        .size:           4
        .value_kind:     hidden_block_count_z
      - .offset:         68
        .size:           2
        .value_kind:     hidden_group_size_x
      - .offset:         70
        .size:           2
        .value_kind:     hidden_group_size_y
      - .offset:         72
        .size:           2
        .value_kind:     hidden_group_size_z
      - .offset:         74
        .size:           2
        .value_kind:     hidden_remainder_x
      - .offset:         76
        .size:           2
        .value_kind:     hidden_remainder_y
      - .offset:         78
        .size:           2
        .value_kind:     hidden_remainder_z
      - .offset:         96
        .size:           8
        .value_kind:     hidden_global_offset_x
      - .offset:         104
        .size:           8
        .value_kind:     hidden_global_offset_y
      - .offset:         112
        .size:           8
        .value_kind:     hidden_global_offset_z
      - .offset:         120
        .size:           2
        .value_kind:     hidden_grid_dims
    .group_segment_fixed_size: 132
    .kernarg_segment_align: 8
    .kernarg_segment_size: 312
    .language:       OpenCL C
    .language_version:
      - 2
      - 0
    .max_flat_workgroup_size: 1024
    .name:           _ZN4vllm32rms_norm_static_fp8_quant_kernelIfN3c1015Float8_e4m3fnuzELi1EEEvPT0_PKT_iS7_PKffii
    .private_segment_fixed_size: 0
    .sgpr_count:     19
    .sgpr_spill_count: 0
    .symbol:         _ZN4vllm32rms_norm_static_fp8_quant_kernelIfN3c1015Float8_e4m3fnuzELi1EEEvPT0_PKT_iS7_PKffii.kd
    .uniform_work_group_size: 1
    .uses_dynamic_stack: false
    .vgpr_count:     15
    .vgpr_spill_count: 0
    .wavefront_size: 32
    .workgroup_processor_mode: 1
  - .args:
      - .actual_access:  write_only
        .address_space:  global
        .offset:         0
        .size:           8
        .value_kind:     global_buffer
      - .address_space:  global
        .offset:         8
        .size:           8
        .value_kind:     global_buffer
      - .offset:         16
        .size:           4
        .value_kind:     by_value
      - .actual_access:  read_only
        .address_space:  global
        .offset:         24
        .size:           8
        .value_kind:     global_buffer
      - .actual_access:  read_only
        .address_space:  global
        .offset:         32
        .size:           8
        .value_kind:     global_buffer
      - .offset:         40
        .size:           4
        .value_kind:     by_value
      - .offset:         44
        .size:           4
        .value_kind:     by_value
      - .offset:         48
        .size:           4
        .value_kind:     by_value
      - .offset:         56
        .size:           4
        .value_kind:     hidden_block_count_x
      - .offset:         60
        .size:           4
        .value_kind:     hidden_block_count_y
      - .offset:         64
        .size:           4
        .value_kind:     hidden_block_count_z
      - .offset:         68
        .size:           2
        .value_kind:     hidden_group_size_x
      - .offset:         70
        .size:           2
        .value_kind:     hidden_group_size_y
      - .offset:         72
        .size:           2
        .value_kind:     hidden_group_size_z
      - .offset:         74
        .size:           2
        .value_kind:     hidden_remainder_x
      - .offset:         76
        .size:           2
        .value_kind:     hidden_remainder_y
      - .offset:         78
        .size:           2
        .value_kind:     hidden_remainder_z
      - .offset:         96
        .size:           8
        .value_kind:     hidden_global_offset_x
      - .offset:         104
        .size:           8
        .value_kind:     hidden_global_offset_y
      - .offset:         112
        .size:           8
        .value_kind:     hidden_global_offset_z
      - .offset:         120
        .size:           2
        .value_kind:     hidden_grid_dims
    .group_segment_fixed_size: 132
    .kernarg_segment_align: 8
    .kernarg_segment_size: 312
    .language:       OpenCL C
    .language_version:
      - 2
      - 0
    .max_flat_workgroup_size: 1024
    .name:           _ZN4vllm32rms_norm_static_fp8_quant_kernelIN3c104HalfENS1_13Float8_e4m3fnELi16EEEvPT0_PKT_iS8_PKffii
    .private_segment_fixed_size: 0
    .sgpr_count:     22
    .sgpr_spill_count: 0
    .symbol:         _ZN4vllm32rms_norm_static_fp8_quant_kernelIN3c104HalfENS1_13Float8_e4m3fnELi16EEEvPT0_PKT_iS8_PKffii.kd
    .uniform_work_group_size: 1
    .uses_dynamic_stack: false
    .vgpr_count:     33
    .vgpr_spill_count: 0
    .wavefront_size: 32
    .workgroup_processor_mode: 1
  - .args:
      - .actual_access:  write_only
        .address_space:  global
        .offset:         0
        .size:           8
        .value_kind:     global_buffer
      - .address_space:  global
        .offset:         8
        .size:           8
        .value_kind:     global_buffer
      - .offset:         16
        .size:           4
        .value_kind:     by_value
      - .actual_access:  read_only
        .address_space:  global
        .offset:         24
        .size:           8
        .value_kind:     global_buffer
      - .actual_access:  read_only
        .address_space:  global
        .offset:         32
        .size:           8
        .value_kind:     global_buffer
      - .offset:         40
        .size:           4
        .value_kind:     by_value
      - .offset:         44
        .size:           4
        .value_kind:     by_value
      - .offset:         48
        .size:           4
        .value_kind:     by_value
      - .offset:         56
        .size:           4
        .value_kind:     hidden_block_count_x
      - .offset:         60
        .size:           4
        .value_kind:     hidden_block_count_y
      - .offset:         64
        .size:           4
        .value_kind:     hidden_block_count_z
      - .offset:         68
        .size:           2
        .value_kind:     hidden_group_size_x
      - .offset:         70
        .size:           2
        .value_kind:     hidden_group_size_y
      - .offset:         72
        .size:           2
        .value_kind:     hidden_group_size_z
      - .offset:         74
        .size:           2
        .value_kind:     hidden_remainder_x
      - .offset:         76
        .size:           2
        .value_kind:     hidden_remainder_y
      - .offset:         78
        .size:           2
        .value_kind:     hidden_remainder_z
      - .offset:         96
        .size:           8
        .value_kind:     hidden_global_offset_x
      - .offset:         104
        .size:           8
        .value_kind:     hidden_global_offset_y
      - .offset:         112
        .size:           8
        .value_kind:     hidden_global_offset_z
      - .offset:         120
        .size:           2
        .value_kind:     hidden_grid_dims
    .group_segment_fixed_size: 132
    .kernarg_segment_align: 8
    .kernarg_segment_size: 312
    .language:       OpenCL C
    .language_version:
      - 2
      - 0
    .max_flat_workgroup_size: 1024
    .name:           _ZN4vllm32rms_norm_static_fp8_quant_kernelIN3c104HalfENS1_13Float8_e4m3fnELi8EEEvPT0_PKT_iS8_PKffii
    .private_segment_fixed_size: 0
    .sgpr_count:     22
    .sgpr_spill_count: 0
    .symbol:         _ZN4vllm32rms_norm_static_fp8_quant_kernelIN3c104HalfENS1_13Float8_e4m3fnELi8EEEvPT0_PKT_iS8_PKffii.kd
    .uniform_work_group_size: 1
    .uses_dynamic_stack: false
    .vgpr_count:     25
    .vgpr_spill_count: 0
    .wavefront_size: 32
    .workgroup_processor_mode: 1
  - .args:
      - .actual_access:  write_only
        .address_space:  global
        .offset:         0
        .size:           8
        .value_kind:     global_buffer
      - .address_space:  global
        .offset:         8
        .size:           8
        .value_kind:     global_buffer
      - .offset:         16
        .size:           4
        .value_kind:     by_value
      - .actual_access:  read_only
        .address_space:  global
        .offset:         24
        .size:           8
        .value_kind:     global_buffer
      - .actual_access:  read_only
        .address_space:  global
        .offset:         32
        .size:           8
        .value_kind:     global_buffer
      - .offset:         40
        .size:           4
        .value_kind:     by_value
      - .offset:         44
        .size:           4
        .value_kind:     by_value
      - .offset:         48
        .size:           4
        .value_kind:     by_value
      - .offset:         56
        .size:           4
        .value_kind:     hidden_block_count_x
      - .offset:         60
        .size:           4
        .value_kind:     hidden_block_count_y
      - .offset:         64
        .size:           4
        .value_kind:     hidden_block_count_z
      - .offset:         68
        .size:           2
        .value_kind:     hidden_group_size_x
      - .offset:         70
        .size:           2
        .value_kind:     hidden_group_size_y
      - .offset:         72
        .size:           2
        .value_kind:     hidden_group_size_z
      - .offset:         74
        .size:           2
        .value_kind:     hidden_remainder_x
      - .offset:         76
        .size:           2
        .value_kind:     hidden_remainder_y
      - .offset:         78
        .size:           2
        .value_kind:     hidden_remainder_z
      - .offset:         96
        .size:           8
        .value_kind:     hidden_global_offset_x
      - .offset:         104
        .size:           8
        .value_kind:     hidden_global_offset_y
      - .offset:         112
        .size:           8
        .value_kind:     hidden_global_offset_z
      - .offset:         120
        .size:           2
        .value_kind:     hidden_grid_dims
    .group_segment_fixed_size: 132
    .kernarg_segment_align: 8
    .kernarg_segment_size: 312
    .language:       OpenCL C
    .language_version:
      - 2
      - 0
    .max_flat_workgroup_size: 1024
    .name:           _ZN4vllm32rms_norm_static_fp8_quant_kernelIN3c104HalfENS1_13Float8_e4m3fnELi4EEEvPT0_PKT_iS8_PKffii
    .private_segment_fixed_size: 0
    .sgpr_count:     22
    .sgpr_spill_count: 0
    .symbol:         _ZN4vllm32rms_norm_static_fp8_quant_kernelIN3c104HalfENS1_13Float8_e4m3fnELi4EEEvPT0_PKT_iS8_PKffii.kd
    .uniform_work_group_size: 1
    .uses_dynamic_stack: false
    .vgpr_count:     21
    .vgpr_spill_count: 0
    .wavefront_size: 32
    .workgroup_processor_mode: 1
  - .args:
      - .actual_access:  write_only
        .address_space:  global
        .offset:         0
        .size:           8
        .value_kind:     global_buffer
      - .address_space:  global
        .offset:         8
        .size:           8
        .value_kind:     global_buffer
      - .offset:         16
        .size:           4
        .value_kind:     by_value
      - .actual_access:  read_only
        .address_space:  global
        .offset:         24
        .size:           8
        .value_kind:     global_buffer
      - .actual_access:  read_only
        .address_space:  global
        .offset:         32
        .size:           8
        .value_kind:     global_buffer
      - .offset:         40
        .size:           4
        .value_kind:     by_value
      - .offset:         44
        .size:           4
        .value_kind:     by_value
      - .offset:         48
        .size:           4
        .value_kind:     by_value
      - .offset:         56
        .size:           4
        .value_kind:     hidden_block_count_x
      - .offset:         60
        .size:           4
        .value_kind:     hidden_block_count_y
      - .offset:         64
        .size:           4
        .value_kind:     hidden_block_count_z
      - .offset:         68
        .size:           2
        .value_kind:     hidden_group_size_x
      - .offset:         70
        .size:           2
        .value_kind:     hidden_group_size_y
      - .offset:         72
        .size:           2
        .value_kind:     hidden_group_size_z
      - .offset:         74
        .size:           2
        .value_kind:     hidden_remainder_x
      - .offset:         76
        .size:           2
        .value_kind:     hidden_remainder_y
      - .offset:         78
        .size:           2
        .value_kind:     hidden_remainder_z
      - .offset:         96
        .size:           8
        .value_kind:     hidden_global_offset_x
      - .offset:         104
        .size:           8
        .value_kind:     hidden_global_offset_y
      - .offset:         112
        .size:           8
        .value_kind:     hidden_global_offset_z
      - .offset:         120
        .size:           2
        .value_kind:     hidden_grid_dims
    .group_segment_fixed_size: 132
    .kernarg_segment_align: 8
    .kernarg_segment_size: 312
    .language:       OpenCL C
    .language_version:
      - 2
      - 0
    .max_flat_workgroup_size: 1024
    .name:           _ZN4vllm32rms_norm_static_fp8_quant_kernelIN3c104HalfENS1_13Float8_e4m3fnELi2EEEvPT0_PKT_iS8_PKffii
    .private_segment_fixed_size: 0
    .sgpr_count:     22
    .sgpr_spill_count: 0
    .symbol:         _ZN4vllm32rms_norm_static_fp8_quant_kernelIN3c104HalfENS1_13Float8_e4m3fnELi2EEEvPT0_PKT_iS8_PKffii.kd
    .uniform_work_group_size: 1
    .uses_dynamic_stack: false
    .vgpr_count:     20
    .vgpr_spill_count: 0
    .wavefront_size: 32
    .workgroup_processor_mode: 1
  - .args:
      - .actual_access:  write_only
        .address_space:  global
        .offset:         0
        .size:           8
        .value_kind:     global_buffer
      - .address_space:  global
        .offset:         8
        .size:           8
        .value_kind:     global_buffer
      - .offset:         16
        .size:           4
        .value_kind:     by_value
      - .actual_access:  read_only
        .address_space:  global
        .offset:         24
        .size:           8
        .value_kind:     global_buffer
      - .actual_access:  read_only
        .address_space:  global
        .offset:         32
        .size:           8
        .value_kind:     global_buffer
      - .offset:         40
        .size:           4
        .value_kind:     by_value
      - .offset:         44
        .size:           4
        .value_kind:     by_value
      - .offset:         48
        .size:           4
        .value_kind:     by_value
      - .offset:         56
        .size:           4
        .value_kind:     hidden_block_count_x
      - .offset:         60
        .size:           4
        .value_kind:     hidden_block_count_y
      - .offset:         64
        .size:           4
        .value_kind:     hidden_block_count_z
      - .offset:         68
        .size:           2
        .value_kind:     hidden_group_size_x
      - .offset:         70
        .size:           2
        .value_kind:     hidden_group_size_y
      - .offset:         72
        .size:           2
        .value_kind:     hidden_group_size_z
      - .offset:         74
        .size:           2
        .value_kind:     hidden_remainder_x
      - .offset:         76
        .size:           2
        .value_kind:     hidden_remainder_y
      - .offset:         78
        .size:           2
        .value_kind:     hidden_remainder_z
      - .offset:         96
        .size:           8
        .value_kind:     hidden_global_offset_x
      - .offset:         104
        .size:           8
        .value_kind:     hidden_global_offset_y
      - .offset:         112
        .size:           8
        .value_kind:     hidden_global_offset_z
      - .offset:         120
        .size:           2
        .value_kind:     hidden_grid_dims
    .group_segment_fixed_size: 132
    .kernarg_segment_align: 8
    .kernarg_segment_size: 312
    .language:       OpenCL C
    .language_version:
      - 2
      - 0
    .max_flat_workgroup_size: 1024
    .name:           _ZN4vllm32rms_norm_static_fp8_quant_kernelIN3c104HalfENS1_13Float8_e4m3fnELi1EEEvPT0_PKT_iS8_PKffii
    .private_segment_fixed_size: 0
    .sgpr_count:     19
    .sgpr_spill_count: 0
    .symbol:         _ZN4vllm32rms_norm_static_fp8_quant_kernelIN3c104HalfENS1_13Float8_e4m3fnELi1EEEvPT0_PKT_iS8_PKffii.kd
    .uniform_work_group_size: 1
    .uses_dynamic_stack: false
    .vgpr_count:     15
    .vgpr_spill_count: 0
    .wavefront_size: 32
    .workgroup_processor_mode: 1
  - .args:
      - .actual_access:  write_only
        .address_space:  global
        .offset:         0
        .size:           8
        .value_kind:     global_buffer
      - .address_space:  global
        .offset:         8
        .size:           8
        .value_kind:     global_buffer
      - .offset:         16
        .size:           4
        .value_kind:     by_value
      - .actual_access:  read_only
        .address_space:  global
        .offset:         24
        .size:           8
        .value_kind:     global_buffer
      - .actual_access:  read_only
        .address_space:  global
        .offset:         32
        .size:           8
        .value_kind:     global_buffer
      - .offset:         40
        .size:           4
        .value_kind:     by_value
      - .offset:         44
        .size:           4
        .value_kind:     by_value
      - .offset:         48
        .size:           4
        .value_kind:     by_value
      - .offset:         56
        .size:           4
        .value_kind:     hidden_block_count_x
      - .offset:         60
        .size:           4
        .value_kind:     hidden_block_count_y
      - .offset:         64
        .size:           4
        .value_kind:     hidden_block_count_z
      - .offset:         68
        .size:           2
        .value_kind:     hidden_group_size_x
      - .offset:         70
        .size:           2
        .value_kind:     hidden_group_size_y
      - .offset:         72
        .size:           2
        .value_kind:     hidden_group_size_z
      - .offset:         74
        .size:           2
        .value_kind:     hidden_remainder_x
      - .offset:         76
        .size:           2
        .value_kind:     hidden_remainder_y
      - .offset:         78
        .size:           2
        .value_kind:     hidden_remainder_z
      - .offset:         96
        .size:           8
        .value_kind:     hidden_global_offset_x
      - .offset:         104
        .size:           8
        .value_kind:     hidden_global_offset_y
      - .offset:         112
        .size:           8
        .value_kind:     hidden_global_offset_z
      - .offset:         120
        .size:           2
        .value_kind:     hidden_grid_dims
    .group_segment_fixed_size: 132
    .kernarg_segment_align: 8
    .kernarg_segment_size: 312
    .language:       OpenCL C
    .language_version:
      - 2
      - 0
    .max_flat_workgroup_size: 1024
    .name:           _ZN4vllm32rms_norm_static_fp8_quant_kernelIN3c104HalfENS1_15Float8_e4m3fnuzELi16EEEvPT0_PKT_iS8_PKffii
    .private_segment_fixed_size: 0
    .sgpr_count:     22
    .sgpr_spill_count: 0
    .symbol:         _ZN4vllm32rms_norm_static_fp8_quant_kernelIN3c104HalfENS1_15Float8_e4m3fnuzELi16EEEvPT0_PKT_iS8_PKffii.kd
    .uniform_work_group_size: 1
    .uses_dynamic_stack: false
    .vgpr_count:     32
    .vgpr_spill_count: 0
    .wavefront_size: 32
    .workgroup_processor_mode: 1
  - .args:
      - .actual_access:  write_only
        .address_space:  global
        .offset:         0
        .size:           8
        .value_kind:     global_buffer
      - .address_space:  global
        .offset:         8
        .size:           8
        .value_kind:     global_buffer
      - .offset:         16
        .size:           4
        .value_kind:     by_value
      - .actual_access:  read_only
        .address_space:  global
        .offset:         24
        .size:           8
        .value_kind:     global_buffer
      - .actual_access:  read_only
        .address_space:  global
        .offset:         32
        .size:           8
        .value_kind:     global_buffer
      - .offset:         40
        .size:           4
        .value_kind:     by_value
      - .offset:         44
        .size:           4
        .value_kind:     by_value
      - .offset:         48
        .size:           4
        .value_kind:     by_value
      - .offset:         56
        .size:           4
        .value_kind:     hidden_block_count_x
      - .offset:         60
        .size:           4
        .value_kind:     hidden_block_count_y
      - .offset:         64
        .size:           4
        .value_kind:     hidden_block_count_z
      - .offset:         68
        .size:           2
        .value_kind:     hidden_group_size_x
      - .offset:         70
        .size:           2
        .value_kind:     hidden_group_size_y
      - .offset:         72
        .size:           2
        .value_kind:     hidden_group_size_z
      - .offset:         74
        .size:           2
        .value_kind:     hidden_remainder_x
      - .offset:         76
        .size:           2
        .value_kind:     hidden_remainder_y
      - .offset:         78
        .size:           2
        .value_kind:     hidden_remainder_z
      - .offset:         96
        .size:           8
        .value_kind:     hidden_global_offset_x
      - .offset:         104
        .size:           8
        .value_kind:     hidden_global_offset_y
      - .offset:         112
        .size:           8
        .value_kind:     hidden_global_offset_z
      - .offset:         120
        .size:           2
        .value_kind:     hidden_grid_dims
    .group_segment_fixed_size: 132
    .kernarg_segment_align: 8
    .kernarg_segment_size: 312
    .language:       OpenCL C
    .language_version:
      - 2
      - 0
    .max_flat_workgroup_size: 1024
    .name:           _ZN4vllm32rms_norm_static_fp8_quant_kernelIN3c104HalfENS1_15Float8_e4m3fnuzELi8EEEvPT0_PKT_iS8_PKffii
    .private_segment_fixed_size: 0
    .sgpr_count:     22
    .sgpr_spill_count: 0
    .symbol:         _ZN4vllm32rms_norm_static_fp8_quant_kernelIN3c104HalfENS1_15Float8_e4m3fnuzELi8EEEvPT0_PKT_iS8_PKffii.kd
    .uniform_work_group_size: 1
    .uses_dynamic_stack: false
    .vgpr_count:     24
    .vgpr_spill_count: 0
    .wavefront_size: 32
    .workgroup_processor_mode: 1
  - .args:
      - .actual_access:  write_only
        .address_space:  global
        .offset:         0
        .size:           8
        .value_kind:     global_buffer
      - .address_space:  global
        .offset:         8
        .size:           8
        .value_kind:     global_buffer
      - .offset:         16
        .size:           4
        .value_kind:     by_value
      - .actual_access:  read_only
        .address_space:  global
        .offset:         24
        .size:           8
        .value_kind:     global_buffer
      - .actual_access:  read_only
        .address_space:  global
        .offset:         32
        .size:           8
        .value_kind:     global_buffer
      - .offset:         40
        .size:           4
        .value_kind:     by_value
      - .offset:         44
        .size:           4
        .value_kind:     by_value
      - .offset:         48
        .size:           4
        .value_kind:     by_value
      - .offset:         56
        .size:           4
        .value_kind:     hidden_block_count_x
      - .offset:         60
        .size:           4
        .value_kind:     hidden_block_count_y
      - .offset:         64
        .size:           4
        .value_kind:     hidden_block_count_z
      - .offset:         68
        .size:           2
        .value_kind:     hidden_group_size_x
      - .offset:         70
        .size:           2
        .value_kind:     hidden_group_size_y
      - .offset:         72
        .size:           2
        .value_kind:     hidden_group_size_z
      - .offset:         74
        .size:           2
        .value_kind:     hidden_remainder_x
      - .offset:         76
        .size:           2
        .value_kind:     hidden_remainder_y
      - .offset:         78
        .size:           2
        .value_kind:     hidden_remainder_z
      - .offset:         96
        .size:           8
        .value_kind:     hidden_global_offset_x
      - .offset:         104
        .size:           8
        .value_kind:     hidden_global_offset_y
      - .offset:         112
        .size:           8
        .value_kind:     hidden_global_offset_z
      - .offset:         120
        .size:           2
        .value_kind:     hidden_grid_dims
    .group_segment_fixed_size: 132
    .kernarg_segment_align: 8
    .kernarg_segment_size: 312
    .language:       OpenCL C
    .language_version:
      - 2
      - 0
    .max_flat_workgroup_size: 1024
    .name:           _ZN4vllm32rms_norm_static_fp8_quant_kernelIN3c104HalfENS1_15Float8_e4m3fnuzELi4EEEvPT0_PKT_iS8_PKffii
    .private_segment_fixed_size: 0
    .sgpr_count:     22
    .sgpr_spill_count: 0
    .symbol:         _ZN4vllm32rms_norm_static_fp8_quant_kernelIN3c104HalfENS1_15Float8_e4m3fnuzELi4EEEvPT0_PKT_iS8_PKffii.kd
    .uniform_work_group_size: 1
    .uses_dynamic_stack: false
    .vgpr_count:     20
    .vgpr_spill_count: 0
    .wavefront_size: 32
    .workgroup_processor_mode: 1
  - .args:
      - .actual_access:  write_only
        .address_space:  global
        .offset:         0
        .size:           8
        .value_kind:     global_buffer
      - .address_space:  global
        .offset:         8
        .size:           8
        .value_kind:     global_buffer
      - .offset:         16
        .size:           4
        .value_kind:     by_value
      - .actual_access:  read_only
        .address_space:  global
        .offset:         24
        .size:           8
        .value_kind:     global_buffer
      - .actual_access:  read_only
        .address_space:  global
        .offset:         32
        .size:           8
        .value_kind:     global_buffer
      - .offset:         40
        .size:           4
        .value_kind:     by_value
      - .offset:         44
        .size:           4
        .value_kind:     by_value
      - .offset:         48
        .size:           4
        .value_kind:     by_value
      - .offset:         56
        .size:           4
        .value_kind:     hidden_block_count_x
      - .offset:         60
        .size:           4
        .value_kind:     hidden_block_count_y
      - .offset:         64
        .size:           4
        .value_kind:     hidden_block_count_z
      - .offset:         68
        .size:           2
        .value_kind:     hidden_group_size_x
      - .offset:         70
        .size:           2
        .value_kind:     hidden_group_size_y
      - .offset:         72
        .size:           2
        .value_kind:     hidden_group_size_z
      - .offset:         74
        .size:           2
        .value_kind:     hidden_remainder_x
      - .offset:         76
        .size:           2
        .value_kind:     hidden_remainder_y
      - .offset:         78
        .size:           2
        .value_kind:     hidden_remainder_z
      - .offset:         96
        .size:           8
        .value_kind:     hidden_global_offset_x
      - .offset:         104
        .size:           8
        .value_kind:     hidden_global_offset_y
      - .offset:         112
        .size:           8
        .value_kind:     hidden_global_offset_z
      - .offset:         120
        .size:           2
        .value_kind:     hidden_grid_dims
    .group_segment_fixed_size: 132
    .kernarg_segment_align: 8
    .kernarg_segment_size: 312
    .language:       OpenCL C
    .language_version:
      - 2
      - 0
    .max_flat_workgroup_size: 1024
    .name:           _ZN4vllm32rms_norm_static_fp8_quant_kernelIN3c104HalfENS1_15Float8_e4m3fnuzELi2EEEvPT0_PKT_iS8_PKffii
    .private_segment_fixed_size: 0
    .sgpr_count:     22
    .sgpr_spill_count: 0
    .symbol:         _ZN4vllm32rms_norm_static_fp8_quant_kernelIN3c104HalfENS1_15Float8_e4m3fnuzELi2EEEvPT0_PKT_iS8_PKffii.kd
    .uniform_work_group_size: 1
    .uses_dynamic_stack: false
    .vgpr_count:     19
    .vgpr_spill_count: 0
    .wavefront_size: 32
    .workgroup_processor_mode: 1
  - .args:
      - .actual_access:  write_only
        .address_space:  global
        .offset:         0
        .size:           8
        .value_kind:     global_buffer
      - .address_space:  global
        .offset:         8
        .size:           8
        .value_kind:     global_buffer
      - .offset:         16
        .size:           4
        .value_kind:     by_value
      - .actual_access:  read_only
        .address_space:  global
        .offset:         24
        .size:           8
        .value_kind:     global_buffer
      - .actual_access:  read_only
        .address_space:  global
        .offset:         32
        .size:           8
        .value_kind:     global_buffer
      - .offset:         40
        .size:           4
        .value_kind:     by_value
      - .offset:         44
        .size:           4
        .value_kind:     by_value
      - .offset:         48
        .size:           4
        .value_kind:     by_value
      - .offset:         56
        .size:           4
        .value_kind:     hidden_block_count_x
      - .offset:         60
        .size:           4
        .value_kind:     hidden_block_count_y
      - .offset:         64
        .size:           4
        .value_kind:     hidden_block_count_z
      - .offset:         68
        .size:           2
        .value_kind:     hidden_group_size_x
      - .offset:         70
        .size:           2
        .value_kind:     hidden_group_size_y
      - .offset:         72
        .size:           2
        .value_kind:     hidden_group_size_z
      - .offset:         74
        .size:           2
        .value_kind:     hidden_remainder_x
      - .offset:         76
        .size:           2
        .value_kind:     hidden_remainder_y
      - .offset:         78
        .size:           2
        .value_kind:     hidden_remainder_z
      - .offset:         96
        .size:           8
        .value_kind:     hidden_global_offset_x
      - .offset:         104
        .size:           8
        .value_kind:     hidden_global_offset_y
      - .offset:         112
        .size:           8
        .value_kind:     hidden_global_offset_z
      - .offset:         120
        .size:           2
        .value_kind:     hidden_grid_dims
    .group_segment_fixed_size: 132
    .kernarg_segment_align: 8
    .kernarg_segment_size: 312
    .language:       OpenCL C
    .language_version:
      - 2
      - 0
    .max_flat_workgroup_size: 1024
    .name:           _ZN4vllm32rms_norm_static_fp8_quant_kernelIN3c104HalfENS1_15Float8_e4m3fnuzELi1EEEvPT0_PKT_iS8_PKffii
    .private_segment_fixed_size: 0
    .sgpr_count:     19
    .sgpr_spill_count: 0
    .symbol:         _ZN4vllm32rms_norm_static_fp8_quant_kernelIN3c104HalfENS1_15Float8_e4m3fnuzELi1EEEvPT0_PKT_iS8_PKffii.kd
    .uniform_work_group_size: 1
    .uses_dynamic_stack: false
    .vgpr_count:     15
    .vgpr_spill_count: 0
    .wavefront_size: 32
    .workgroup_processor_mode: 1
  - .args:
      - .actual_access:  write_only
        .address_space:  global
        .offset:         0
        .size:           8
        .value_kind:     global_buffer
      - .address_space:  global
        .offset:         8
        .size:           8
        .value_kind:     global_buffer
      - .offset:         16
        .size:           4
        .value_kind:     by_value
      - .actual_access:  read_only
        .address_space:  global
        .offset:         24
        .size:           8
        .value_kind:     global_buffer
      - .actual_access:  read_only
        .address_space:  global
        .offset:         32
        .size:           8
        .value_kind:     global_buffer
      - .offset:         40
        .size:           4
        .value_kind:     by_value
      - .offset:         44
        .size:           4
        .value_kind:     by_value
      - .offset:         48
        .size:           4
        .value_kind:     by_value
      - .offset:         56
        .size:           4
        .value_kind:     hidden_block_count_x
      - .offset:         60
        .size:           4
        .value_kind:     hidden_block_count_y
      - .offset:         64
        .size:           4
        .value_kind:     hidden_block_count_z
      - .offset:         68
        .size:           2
        .value_kind:     hidden_group_size_x
      - .offset:         70
        .size:           2
        .value_kind:     hidden_group_size_y
      - .offset:         72
        .size:           2
        .value_kind:     hidden_group_size_z
      - .offset:         74
        .size:           2
        .value_kind:     hidden_remainder_x
      - .offset:         76
        .size:           2
        .value_kind:     hidden_remainder_y
      - .offset:         78
        .size:           2
        .value_kind:     hidden_remainder_z
      - .offset:         96
        .size:           8
        .value_kind:     hidden_global_offset_x
      - .offset:         104
        .size:           8
        .value_kind:     hidden_global_offset_y
      - .offset:         112
        .size:           8
        .value_kind:     hidden_global_offset_z
      - .offset:         120
        .size:           2
        .value_kind:     hidden_grid_dims
    .group_segment_fixed_size: 132
    .kernarg_segment_align: 8
    .kernarg_segment_size: 312
    .language:       OpenCL C
    .language_version:
      - 2
      - 0
    .max_flat_workgroup_size: 1024
    .name:           _ZN4vllm32rms_norm_static_fp8_quant_kernelIN3c108BFloat16ENS1_13Float8_e4m3fnELi16EEEvPT0_PKT_iS8_PKffii
    .private_segment_fixed_size: 0
    .sgpr_count:     22
    .sgpr_spill_count: 0
    .symbol:         _ZN4vllm32rms_norm_static_fp8_quant_kernelIN3c108BFloat16ENS1_13Float8_e4m3fnELi16EEEvPT0_PKT_iS8_PKffii.kd
    .uniform_work_group_size: 1
    .uses_dynamic_stack: false
    .vgpr_count:     33
    .vgpr_spill_count: 0
    .wavefront_size: 32
    .workgroup_processor_mode: 1
  - .args:
      - .actual_access:  write_only
        .address_space:  global
        .offset:         0
        .size:           8
        .value_kind:     global_buffer
      - .address_space:  global
        .offset:         8
        .size:           8
        .value_kind:     global_buffer
      - .offset:         16
        .size:           4
        .value_kind:     by_value
      - .actual_access:  read_only
        .address_space:  global
        .offset:         24
        .size:           8
        .value_kind:     global_buffer
      - .actual_access:  read_only
        .address_space:  global
        .offset:         32
        .size:           8
        .value_kind:     global_buffer
      - .offset:         40
        .size:           4
        .value_kind:     by_value
      - .offset:         44
        .size:           4
        .value_kind:     by_value
      - .offset:         48
        .size:           4
        .value_kind:     by_value
      - .offset:         56
        .size:           4
        .value_kind:     hidden_block_count_x
      - .offset:         60
        .size:           4
        .value_kind:     hidden_block_count_y
      - .offset:         64
        .size:           4
        .value_kind:     hidden_block_count_z
      - .offset:         68
        .size:           2
        .value_kind:     hidden_group_size_x
      - .offset:         70
        .size:           2
        .value_kind:     hidden_group_size_y
      - .offset:         72
        .size:           2
        .value_kind:     hidden_group_size_z
      - .offset:         74
        .size:           2
        .value_kind:     hidden_remainder_x
      - .offset:         76
        .size:           2
        .value_kind:     hidden_remainder_y
      - .offset:         78
        .size:           2
        .value_kind:     hidden_remainder_z
      - .offset:         96
        .size:           8
        .value_kind:     hidden_global_offset_x
      - .offset:         104
        .size:           8
        .value_kind:     hidden_global_offset_y
      - .offset:         112
        .size:           8
        .value_kind:     hidden_global_offset_z
      - .offset:         120
        .size:           2
        .value_kind:     hidden_grid_dims
    .group_segment_fixed_size: 132
    .kernarg_segment_align: 8
    .kernarg_segment_size: 312
    .language:       OpenCL C
    .language_version:
      - 2
      - 0
    .max_flat_workgroup_size: 1024
    .name:           _ZN4vllm32rms_norm_static_fp8_quant_kernelIN3c108BFloat16ENS1_13Float8_e4m3fnELi8EEEvPT0_PKT_iS8_PKffii
    .private_segment_fixed_size: 0
    .sgpr_count:     22
    .sgpr_spill_count: 0
    .symbol:         _ZN4vllm32rms_norm_static_fp8_quant_kernelIN3c108BFloat16ENS1_13Float8_e4m3fnELi8EEEvPT0_PKT_iS8_PKffii.kd
    .uniform_work_group_size: 1
    .uses_dynamic_stack: false
    .vgpr_count:     25
    .vgpr_spill_count: 0
    .wavefront_size: 32
    .workgroup_processor_mode: 1
  - .args:
      - .actual_access:  write_only
        .address_space:  global
        .offset:         0
        .size:           8
        .value_kind:     global_buffer
      - .address_space:  global
        .offset:         8
        .size:           8
        .value_kind:     global_buffer
      - .offset:         16
        .size:           4
        .value_kind:     by_value
      - .actual_access:  read_only
        .address_space:  global
        .offset:         24
        .size:           8
        .value_kind:     global_buffer
      - .actual_access:  read_only
        .address_space:  global
        .offset:         32
        .size:           8
        .value_kind:     global_buffer
      - .offset:         40
        .size:           4
        .value_kind:     by_value
      - .offset:         44
        .size:           4
        .value_kind:     by_value
      - .offset:         48
        .size:           4
        .value_kind:     by_value
      - .offset:         56
        .size:           4
        .value_kind:     hidden_block_count_x
      - .offset:         60
        .size:           4
        .value_kind:     hidden_block_count_y
      - .offset:         64
        .size:           4
        .value_kind:     hidden_block_count_z
      - .offset:         68
        .size:           2
        .value_kind:     hidden_group_size_x
      - .offset:         70
        .size:           2
        .value_kind:     hidden_group_size_y
      - .offset:         72
        .size:           2
        .value_kind:     hidden_group_size_z
      - .offset:         74
        .size:           2
        .value_kind:     hidden_remainder_x
      - .offset:         76
        .size:           2
        .value_kind:     hidden_remainder_y
      - .offset:         78
        .size:           2
        .value_kind:     hidden_remainder_z
      - .offset:         96
        .size:           8
        .value_kind:     hidden_global_offset_x
      - .offset:         104
        .size:           8
        .value_kind:     hidden_global_offset_y
      - .offset:         112
        .size:           8
        .value_kind:     hidden_global_offset_z
      - .offset:         120
        .size:           2
        .value_kind:     hidden_grid_dims
    .group_segment_fixed_size: 132
    .kernarg_segment_align: 8
    .kernarg_segment_size: 312
    .language:       OpenCL C
    .language_version:
      - 2
      - 0
    .max_flat_workgroup_size: 1024
    .name:           _ZN4vllm32rms_norm_static_fp8_quant_kernelIN3c108BFloat16ENS1_13Float8_e4m3fnELi4EEEvPT0_PKT_iS8_PKffii
    .private_segment_fixed_size: 0
    .sgpr_count:     22
    .sgpr_spill_count: 0
    .symbol:         _ZN4vllm32rms_norm_static_fp8_quant_kernelIN3c108BFloat16ENS1_13Float8_e4m3fnELi4EEEvPT0_PKT_iS8_PKffii.kd
    .uniform_work_group_size: 1
    .uses_dynamic_stack: false
    .vgpr_count:     22
    .vgpr_spill_count: 0
    .wavefront_size: 32
    .workgroup_processor_mode: 1
  - .args:
      - .actual_access:  write_only
        .address_space:  global
        .offset:         0
        .size:           8
        .value_kind:     global_buffer
      - .address_space:  global
        .offset:         8
        .size:           8
        .value_kind:     global_buffer
      - .offset:         16
        .size:           4
        .value_kind:     by_value
      - .actual_access:  read_only
        .address_space:  global
        .offset:         24
        .size:           8
        .value_kind:     global_buffer
      - .actual_access:  read_only
        .address_space:  global
        .offset:         32
        .size:           8
        .value_kind:     global_buffer
      - .offset:         40
        .size:           4
        .value_kind:     by_value
      - .offset:         44
        .size:           4
        .value_kind:     by_value
      - .offset:         48
        .size:           4
        .value_kind:     by_value
      - .offset:         56
        .size:           4
        .value_kind:     hidden_block_count_x
      - .offset:         60
        .size:           4
        .value_kind:     hidden_block_count_y
      - .offset:         64
        .size:           4
        .value_kind:     hidden_block_count_z
      - .offset:         68
        .size:           2
        .value_kind:     hidden_group_size_x
      - .offset:         70
        .size:           2
        .value_kind:     hidden_group_size_y
      - .offset:         72
        .size:           2
        .value_kind:     hidden_group_size_z
      - .offset:         74
        .size:           2
        .value_kind:     hidden_remainder_x
      - .offset:         76
        .size:           2
        .value_kind:     hidden_remainder_y
      - .offset:         78
        .size:           2
        .value_kind:     hidden_remainder_z
      - .offset:         96
        .size:           8
        .value_kind:     hidden_global_offset_x
      - .offset:         104
        .size:           8
        .value_kind:     hidden_global_offset_y
      - .offset:         112
        .size:           8
        .value_kind:     hidden_global_offset_z
      - .offset:         120
        .size:           2
        .value_kind:     hidden_grid_dims
    .group_segment_fixed_size: 132
    .kernarg_segment_align: 8
    .kernarg_segment_size: 312
    .language:       OpenCL C
    .language_version:
      - 2
      - 0
    .max_flat_workgroup_size: 1024
    .name:           _ZN4vllm32rms_norm_static_fp8_quant_kernelIN3c108BFloat16ENS1_13Float8_e4m3fnELi2EEEvPT0_PKT_iS8_PKffii
    .private_segment_fixed_size: 0
    .sgpr_count:     22
    .sgpr_spill_count: 0
    .symbol:         _ZN4vllm32rms_norm_static_fp8_quant_kernelIN3c108BFloat16ENS1_13Float8_e4m3fnELi2EEEvPT0_PKT_iS8_PKffii.kd
    .uniform_work_group_size: 1
    .uses_dynamic_stack: false
    .vgpr_count:     20
    .vgpr_spill_count: 0
    .wavefront_size: 32
    .workgroup_processor_mode: 1
  - .args:
      - .actual_access:  write_only
        .address_space:  global
        .offset:         0
        .size:           8
        .value_kind:     global_buffer
      - .address_space:  global
        .offset:         8
        .size:           8
        .value_kind:     global_buffer
      - .offset:         16
        .size:           4
        .value_kind:     by_value
      - .actual_access:  read_only
        .address_space:  global
        .offset:         24
        .size:           8
        .value_kind:     global_buffer
      - .actual_access:  read_only
        .address_space:  global
        .offset:         32
        .size:           8
        .value_kind:     global_buffer
      - .offset:         40
        .size:           4
        .value_kind:     by_value
      - .offset:         44
        .size:           4
        .value_kind:     by_value
      - .offset:         48
        .size:           4
        .value_kind:     by_value
      - .offset:         56
        .size:           4
        .value_kind:     hidden_block_count_x
      - .offset:         60
        .size:           4
        .value_kind:     hidden_block_count_y
      - .offset:         64
        .size:           4
        .value_kind:     hidden_block_count_z
      - .offset:         68
        .size:           2
        .value_kind:     hidden_group_size_x
      - .offset:         70
        .size:           2
        .value_kind:     hidden_group_size_y
      - .offset:         72
        .size:           2
        .value_kind:     hidden_group_size_z
      - .offset:         74
        .size:           2
        .value_kind:     hidden_remainder_x
      - .offset:         76
        .size:           2
        .value_kind:     hidden_remainder_y
      - .offset:         78
        .size:           2
        .value_kind:     hidden_remainder_z
      - .offset:         96
        .size:           8
        .value_kind:     hidden_global_offset_x
      - .offset:         104
        .size:           8
        .value_kind:     hidden_global_offset_y
      - .offset:         112
        .size:           8
        .value_kind:     hidden_global_offset_z
      - .offset:         120
        .size:           2
        .value_kind:     hidden_grid_dims
    .group_segment_fixed_size: 132
    .kernarg_segment_align: 8
    .kernarg_segment_size: 312
    .language:       OpenCL C
    .language_version:
      - 2
      - 0
    .max_flat_workgroup_size: 1024
    .name:           _ZN4vllm32rms_norm_static_fp8_quant_kernelIN3c108BFloat16ENS1_13Float8_e4m3fnELi1EEEvPT0_PKT_iS8_PKffii
    .private_segment_fixed_size: 0
    .sgpr_count:     19
    .sgpr_spill_count: 0
    .symbol:         _ZN4vllm32rms_norm_static_fp8_quant_kernelIN3c108BFloat16ENS1_13Float8_e4m3fnELi1EEEvPT0_PKT_iS8_PKffii.kd
    .uniform_work_group_size: 1
    .uses_dynamic_stack: false
    .vgpr_count:     15
    .vgpr_spill_count: 0
    .wavefront_size: 32
    .workgroup_processor_mode: 1
  - .args:
      - .actual_access:  write_only
        .address_space:  global
        .offset:         0
        .size:           8
        .value_kind:     global_buffer
      - .address_space:  global
        .offset:         8
        .size:           8
        .value_kind:     global_buffer
      - .offset:         16
        .size:           4
        .value_kind:     by_value
      - .actual_access:  read_only
        .address_space:  global
        .offset:         24
        .size:           8
        .value_kind:     global_buffer
      - .actual_access:  read_only
        .address_space:  global
        .offset:         32
        .size:           8
        .value_kind:     global_buffer
      - .offset:         40
        .size:           4
        .value_kind:     by_value
      - .offset:         44
        .size:           4
        .value_kind:     by_value
      - .offset:         48
        .size:           4
        .value_kind:     by_value
      - .offset:         56
        .size:           4
        .value_kind:     hidden_block_count_x
      - .offset:         60
        .size:           4
        .value_kind:     hidden_block_count_y
      - .offset:         64
        .size:           4
        .value_kind:     hidden_block_count_z
      - .offset:         68
        .size:           2
        .value_kind:     hidden_group_size_x
      - .offset:         70
        .size:           2
        .value_kind:     hidden_group_size_y
      - .offset:         72
        .size:           2
        .value_kind:     hidden_group_size_z
      - .offset:         74
        .size:           2
        .value_kind:     hidden_remainder_x
      - .offset:         76
        .size:           2
        .value_kind:     hidden_remainder_y
      - .offset:         78
        .size:           2
        .value_kind:     hidden_remainder_z
      - .offset:         96
        .size:           8
        .value_kind:     hidden_global_offset_x
      - .offset:         104
        .size:           8
        .value_kind:     hidden_global_offset_y
      - .offset:         112
        .size:           8
        .value_kind:     hidden_global_offset_z
      - .offset:         120
        .size:           2
        .value_kind:     hidden_grid_dims
    .group_segment_fixed_size: 132
    .kernarg_segment_align: 8
    .kernarg_segment_size: 312
    .language:       OpenCL C
    .language_version:
      - 2
      - 0
    .max_flat_workgroup_size: 1024
    .name:           _ZN4vllm32rms_norm_static_fp8_quant_kernelIN3c108BFloat16ENS1_15Float8_e4m3fnuzELi16EEEvPT0_PKT_iS8_PKffii
    .private_segment_fixed_size: 0
    .sgpr_count:     22
    .sgpr_spill_count: 0
    .symbol:         _ZN4vllm32rms_norm_static_fp8_quant_kernelIN3c108BFloat16ENS1_15Float8_e4m3fnuzELi16EEEvPT0_PKT_iS8_PKffii.kd
    .uniform_work_group_size: 1
    .uses_dynamic_stack: false
    .vgpr_count:     32
    .vgpr_spill_count: 0
    .wavefront_size: 32
    .workgroup_processor_mode: 1
  - .args:
      - .actual_access:  write_only
        .address_space:  global
        .offset:         0
        .size:           8
        .value_kind:     global_buffer
      - .address_space:  global
        .offset:         8
        .size:           8
        .value_kind:     global_buffer
      - .offset:         16
        .size:           4
        .value_kind:     by_value
      - .actual_access:  read_only
        .address_space:  global
        .offset:         24
        .size:           8
        .value_kind:     global_buffer
      - .actual_access:  read_only
        .address_space:  global
        .offset:         32
        .size:           8
        .value_kind:     global_buffer
      - .offset:         40
        .size:           4
        .value_kind:     by_value
      - .offset:         44
        .size:           4
        .value_kind:     by_value
      - .offset:         48
        .size:           4
        .value_kind:     by_value
      - .offset:         56
        .size:           4
        .value_kind:     hidden_block_count_x
      - .offset:         60
        .size:           4
        .value_kind:     hidden_block_count_y
      - .offset:         64
        .size:           4
        .value_kind:     hidden_block_count_z
      - .offset:         68
        .size:           2
        .value_kind:     hidden_group_size_x
      - .offset:         70
        .size:           2
        .value_kind:     hidden_group_size_y
      - .offset:         72
        .size:           2
        .value_kind:     hidden_group_size_z
      - .offset:         74
        .size:           2
        .value_kind:     hidden_remainder_x
      - .offset:         76
        .size:           2
        .value_kind:     hidden_remainder_y
      - .offset:         78
        .size:           2
        .value_kind:     hidden_remainder_z
      - .offset:         96
        .size:           8
        .value_kind:     hidden_global_offset_x
      - .offset:         104
        .size:           8
        .value_kind:     hidden_global_offset_y
      - .offset:         112
        .size:           8
        .value_kind:     hidden_global_offset_z
      - .offset:         120
        .size:           2
        .value_kind:     hidden_grid_dims
    .group_segment_fixed_size: 132
    .kernarg_segment_align: 8
    .kernarg_segment_size: 312
    .language:       OpenCL C
    .language_version:
      - 2
      - 0
    .max_flat_workgroup_size: 1024
    .name:           _ZN4vllm32rms_norm_static_fp8_quant_kernelIN3c108BFloat16ENS1_15Float8_e4m3fnuzELi8EEEvPT0_PKT_iS8_PKffii
    .private_segment_fixed_size: 0
    .sgpr_count:     22
    .sgpr_spill_count: 0
    .symbol:         _ZN4vllm32rms_norm_static_fp8_quant_kernelIN3c108BFloat16ENS1_15Float8_e4m3fnuzELi8EEEvPT0_PKT_iS8_PKffii.kd
    .uniform_work_group_size: 1
    .uses_dynamic_stack: false
    .vgpr_count:     24
    .vgpr_spill_count: 0
    .wavefront_size: 32
    .workgroup_processor_mode: 1
  - .args:
      - .actual_access:  write_only
        .address_space:  global
        .offset:         0
        .size:           8
        .value_kind:     global_buffer
      - .address_space:  global
        .offset:         8
        .size:           8
        .value_kind:     global_buffer
      - .offset:         16
        .size:           4
        .value_kind:     by_value
      - .actual_access:  read_only
        .address_space:  global
        .offset:         24
        .size:           8
        .value_kind:     global_buffer
      - .actual_access:  read_only
        .address_space:  global
        .offset:         32
        .size:           8
        .value_kind:     global_buffer
      - .offset:         40
        .size:           4
        .value_kind:     by_value
      - .offset:         44
        .size:           4
        .value_kind:     by_value
      - .offset:         48
        .size:           4
        .value_kind:     by_value
      - .offset:         56
        .size:           4
        .value_kind:     hidden_block_count_x
      - .offset:         60
        .size:           4
        .value_kind:     hidden_block_count_y
      - .offset:         64
        .size:           4
        .value_kind:     hidden_block_count_z
      - .offset:         68
        .size:           2
        .value_kind:     hidden_group_size_x
      - .offset:         70
        .size:           2
        .value_kind:     hidden_group_size_y
      - .offset:         72
        .size:           2
        .value_kind:     hidden_group_size_z
      - .offset:         74
        .size:           2
        .value_kind:     hidden_remainder_x
      - .offset:         76
        .size:           2
        .value_kind:     hidden_remainder_y
      - .offset:         78
        .size:           2
        .value_kind:     hidden_remainder_z
      - .offset:         96
        .size:           8
        .value_kind:     hidden_global_offset_x
      - .offset:         104
        .size:           8
        .value_kind:     hidden_global_offset_y
      - .offset:         112
        .size:           8
        .value_kind:     hidden_global_offset_z
      - .offset:         120
        .size:           2
        .value_kind:     hidden_grid_dims
    .group_segment_fixed_size: 132
    .kernarg_segment_align: 8
    .kernarg_segment_size: 312
    .language:       OpenCL C
    .language_version:
      - 2
      - 0
    .max_flat_workgroup_size: 1024
    .name:           _ZN4vllm32rms_norm_static_fp8_quant_kernelIN3c108BFloat16ENS1_15Float8_e4m3fnuzELi4EEEvPT0_PKT_iS8_PKffii
    .private_segment_fixed_size: 0
    .sgpr_count:     22
    .sgpr_spill_count: 0
    .symbol:         _ZN4vllm32rms_norm_static_fp8_quant_kernelIN3c108BFloat16ENS1_15Float8_e4m3fnuzELi4EEEvPT0_PKT_iS8_PKffii.kd
    .uniform_work_group_size: 1
    .uses_dynamic_stack: false
    .vgpr_count:     21
    .vgpr_spill_count: 0
    .wavefront_size: 32
    .workgroup_processor_mode: 1
  - .args:
      - .actual_access:  write_only
        .address_space:  global
        .offset:         0
        .size:           8
        .value_kind:     global_buffer
      - .address_space:  global
        .offset:         8
        .size:           8
        .value_kind:     global_buffer
      - .offset:         16
        .size:           4
        .value_kind:     by_value
      - .actual_access:  read_only
        .address_space:  global
        .offset:         24
        .size:           8
        .value_kind:     global_buffer
      - .actual_access:  read_only
        .address_space:  global
        .offset:         32
        .size:           8
        .value_kind:     global_buffer
      - .offset:         40
        .size:           4
        .value_kind:     by_value
      - .offset:         44
        .size:           4
        .value_kind:     by_value
      - .offset:         48
        .size:           4
        .value_kind:     by_value
      - .offset:         56
        .size:           4
        .value_kind:     hidden_block_count_x
      - .offset:         60
        .size:           4
        .value_kind:     hidden_block_count_y
      - .offset:         64
        .size:           4
        .value_kind:     hidden_block_count_z
      - .offset:         68
        .size:           2
        .value_kind:     hidden_group_size_x
      - .offset:         70
        .size:           2
        .value_kind:     hidden_group_size_y
      - .offset:         72
        .size:           2
        .value_kind:     hidden_group_size_z
      - .offset:         74
        .size:           2
        .value_kind:     hidden_remainder_x
      - .offset:         76
        .size:           2
        .value_kind:     hidden_remainder_y
      - .offset:         78
        .size:           2
        .value_kind:     hidden_remainder_z
      - .offset:         96
        .size:           8
        .value_kind:     hidden_global_offset_x
      - .offset:         104
        .size:           8
        .value_kind:     hidden_global_offset_y
      - .offset:         112
        .size:           8
        .value_kind:     hidden_global_offset_z
      - .offset:         120
        .size:           2
        .value_kind:     hidden_grid_dims
    .group_segment_fixed_size: 132
    .kernarg_segment_align: 8
    .kernarg_segment_size: 312
    .language:       OpenCL C
    .language_version:
      - 2
      - 0
    .max_flat_workgroup_size: 1024
    .name:           _ZN4vllm32rms_norm_static_fp8_quant_kernelIN3c108BFloat16ENS1_15Float8_e4m3fnuzELi2EEEvPT0_PKT_iS8_PKffii
    .private_segment_fixed_size: 0
    .sgpr_count:     22
    .sgpr_spill_count: 0
    .symbol:         _ZN4vllm32rms_norm_static_fp8_quant_kernelIN3c108BFloat16ENS1_15Float8_e4m3fnuzELi2EEEvPT0_PKT_iS8_PKffii.kd
    .uniform_work_group_size: 1
    .uses_dynamic_stack: false
    .vgpr_count:     19
    .vgpr_spill_count: 0
    .wavefront_size: 32
    .workgroup_processor_mode: 1
  - .args:
      - .actual_access:  write_only
        .address_space:  global
        .offset:         0
        .size:           8
        .value_kind:     global_buffer
      - .address_space:  global
        .offset:         8
        .size:           8
        .value_kind:     global_buffer
      - .offset:         16
        .size:           4
        .value_kind:     by_value
      - .actual_access:  read_only
        .address_space:  global
        .offset:         24
        .size:           8
        .value_kind:     global_buffer
      - .actual_access:  read_only
        .address_space:  global
        .offset:         32
        .size:           8
        .value_kind:     global_buffer
      - .offset:         40
        .size:           4
        .value_kind:     by_value
      - .offset:         44
        .size:           4
        .value_kind:     by_value
      - .offset:         48
        .size:           4
        .value_kind:     by_value
      - .offset:         56
        .size:           4
        .value_kind:     hidden_block_count_x
      - .offset:         60
        .size:           4
        .value_kind:     hidden_block_count_y
      - .offset:         64
        .size:           4
        .value_kind:     hidden_block_count_z
      - .offset:         68
        .size:           2
        .value_kind:     hidden_group_size_x
      - .offset:         70
        .size:           2
        .value_kind:     hidden_group_size_y
      - .offset:         72
        .size:           2
        .value_kind:     hidden_group_size_z
      - .offset:         74
        .size:           2
        .value_kind:     hidden_remainder_x
      - .offset:         76
        .size:           2
        .value_kind:     hidden_remainder_y
      - .offset:         78
        .size:           2
        .value_kind:     hidden_remainder_z
      - .offset:         96
        .size:           8
        .value_kind:     hidden_global_offset_x
      - .offset:         104
        .size:           8
        .value_kind:     hidden_global_offset_y
      - .offset:         112
        .size:           8
        .value_kind:     hidden_global_offset_z
      - .offset:         120
        .size:           2
        .value_kind:     hidden_grid_dims
    .group_segment_fixed_size: 132
    .kernarg_segment_align: 8
    .kernarg_segment_size: 312
    .language:       OpenCL C
    .language_version:
      - 2
      - 0
    .max_flat_workgroup_size: 1024
    .name:           _ZN4vllm32rms_norm_static_fp8_quant_kernelIN3c108BFloat16ENS1_15Float8_e4m3fnuzELi1EEEvPT0_PKT_iS8_PKffii
    .private_segment_fixed_size: 0
    .sgpr_count:     19
    .sgpr_spill_count: 0
    .symbol:         _ZN4vllm32rms_norm_static_fp8_quant_kernelIN3c108BFloat16ENS1_15Float8_e4m3fnuzELi1EEEvPT0_PKT_iS8_PKffii.kd
    .uniform_work_group_size: 1
    .uses_dynamic_stack: false
    .vgpr_count:     15
    .vgpr_spill_count: 0
    .wavefront_size: 32
    .workgroup_processor_mode: 1
  - .args:
      - .actual_access:  write_only
        .address_space:  global
        .offset:         0
        .size:           8
        .value_kind:     global_buffer
      - .actual_access:  read_only
        .address_space:  global
        .offset:         8
        .size:           8
        .value_kind:     global_buffer
      - .offset:         16
        .size:           4
        .value_kind:     by_value
      - .address_space:  global
        .offset:         24
        .size:           8
        .value_kind:     global_buffer
      - .actual_access:  read_only
        .address_space:  global
        .offset:         32
        .size:           8
        .value_kind:     global_buffer
      - .actual_access:  read_only
        .address_space:  global
        .offset:         40
        .size:           8
        .value_kind:     global_buffer
      - .offset:         48
        .size:           4
        .value_kind:     by_value
      - .offset:         52
        .size:           4
        .value_kind:     by_value
      - .offset:         56
        .size:           4
        .value_kind:     by_value
      - .offset:         64
        .size:           4
        .value_kind:     hidden_block_count_x
      - .offset:         68
        .size:           4
        .value_kind:     hidden_block_count_y
      - .offset:         72
        .size:           4
        .value_kind:     hidden_block_count_z
      - .offset:         76
        .size:           2
        .value_kind:     hidden_group_size_x
      - .offset:         78
        .size:           2
        .value_kind:     hidden_group_size_y
      - .offset:         80
        .size:           2
        .value_kind:     hidden_group_size_z
      - .offset:         82
        .size:           2
        .value_kind:     hidden_remainder_x
      - .offset:         84
        .size:           2
        .value_kind:     hidden_remainder_y
      - .offset:         86
        .size:           2
        .value_kind:     hidden_remainder_z
      - .offset:         104
        .size:           8
        .value_kind:     hidden_global_offset_x
      - .offset:         112
        .size:           8
        .value_kind:     hidden_global_offset_y
      - .offset:         120
        .size:           8
        .value_kind:     hidden_global_offset_z
      - .offset:         128
        .size:           2
        .value_kind:     hidden_grid_dims
    .group_segment_fixed_size: 132
    .kernarg_segment_align: 8
    .kernarg_segment_size: 320
    .language:       OpenCL C
    .language_version:
      - 2
      - 0
    .max_flat_workgroup_size: 1024
    .name:           _ZN4vllm42fused_add_rms_norm_static_fp8_quant_kernelIfLi8EN3c1013Float8_e4m3fnEEENSt9enable_ifIXaagtT0_Li0Esr12_typeConvertIT_EE6existsEvE4typeEPT1_PS4_iS9_PKS4_PKffii
    .private_segment_fixed_size: 0
    .sgpr_count:     23
    .sgpr_spill_count: 0
    .symbol:         _ZN4vllm42fused_add_rms_norm_static_fp8_quant_kernelIfLi8EN3c1013Float8_e4m3fnEEENSt9enable_ifIXaagtT0_Li0Esr12_typeConvertIT_EE6existsEvE4typeEPT1_PS4_iS9_PKS4_PKffii.kd
    .uniform_work_group_size: 1
    .uses_dynamic_stack: false
    .vgpr_count:     36
    .vgpr_spill_count: 0
    .wavefront_size: 32
    .workgroup_processor_mode: 1
  - .args:
      - .actual_access:  write_only
        .address_space:  global
        .offset:         0
        .size:           8
        .value_kind:     global_buffer
      - .actual_access:  read_only
        .address_space:  global
        .offset:         8
        .size:           8
        .value_kind:     global_buffer
      - .offset:         16
        .size:           4
        .value_kind:     by_value
      - .address_space:  global
        .offset:         24
        .size:           8
        .value_kind:     global_buffer
      - .actual_access:  read_only
        .address_space:  global
        .offset:         32
        .size:           8
        .value_kind:     global_buffer
      - .actual_access:  read_only
        .address_space:  global
        .offset:         40
        .size:           8
        .value_kind:     global_buffer
      - .offset:         48
        .size:           4
        .value_kind:     by_value
      - .offset:         52
        .size:           4
        .value_kind:     by_value
      - .offset:         56
        .size:           4
        .value_kind:     by_value
      - .offset:         64
        .size:           4
        .value_kind:     hidden_block_count_x
      - .offset:         68
        .size:           4
        .value_kind:     hidden_block_count_y
      - .offset:         72
        .size:           4
        .value_kind:     hidden_block_count_z
      - .offset:         76
        .size:           2
        .value_kind:     hidden_group_size_x
      - .offset:         78
        .size:           2
        .value_kind:     hidden_group_size_y
      - .offset:         80
        .size:           2
        .value_kind:     hidden_group_size_z
      - .offset:         82
        .size:           2
        .value_kind:     hidden_remainder_x
      - .offset:         84
        .size:           2
        .value_kind:     hidden_remainder_y
      - .offset:         86
        .size:           2
        .value_kind:     hidden_remainder_z
      - .offset:         104
        .size:           8
        .value_kind:     hidden_global_offset_x
      - .offset:         112
        .size:           8
        .value_kind:     hidden_global_offset_y
      - .offset:         120
        .size:           8
        .value_kind:     hidden_global_offset_z
      - .offset:         128
        .size:           2
        .value_kind:     hidden_grid_dims
    .group_segment_fixed_size: 132
    .kernarg_segment_align: 8
    .kernarg_segment_size: 320
    .language:       OpenCL C
    .language_version:
      - 2
      - 0
    .max_flat_workgroup_size: 1024
    .name:           _ZN4vllm42fused_add_rms_norm_static_fp8_quant_kernelIfLi8EN3c1015Float8_e4m3fnuzEEENSt9enable_ifIXaagtT0_Li0Esr12_typeConvertIT_EE6existsEvE4typeEPT1_PS4_iS9_PKS4_PKffii
    .private_segment_fixed_size: 0
    .sgpr_count:     23
    .sgpr_spill_count: 0
    .symbol:         _ZN4vllm42fused_add_rms_norm_static_fp8_quant_kernelIfLi8EN3c1015Float8_e4m3fnuzEEENSt9enable_ifIXaagtT0_Li0Esr12_typeConvertIT_EE6existsEvE4typeEPT1_PS4_iS9_PKS4_PKffii.kd
    .uniform_work_group_size: 1
    .uses_dynamic_stack: false
    .vgpr_count:     35
    .vgpr_spill_count: 0
    .wavefront_size: 32
    .workgroup_processor_mode: 1
  - .args:
      - .actual_access:  write_only
        .address_space:  global
        .offset:         0
        .size:           8
        .value_kind:     global_buffer
      - .actual_access:  read_only
        .address_space:  global
        .offset:         8
        .size:           8
        .value_kind:     global_buffer
      - .offset:         16
        .size:           4
        .value_kind:     by_value
      - .address_space:  global
        .offset:         24
        .size:           8
        .value_kind:     global_buffer
      - .actual_access:  read_only
        .address_space:  global
        .offset:         32
        .size:           8
        .value_kind:     global_buffer
      - .actual_access:  read_only
        .address_space:  global
        .offset:         40
        .size:           8
        .value_kind:     global_buffer
      - .offset:         48
        .size:           4
        .value_kind:     by_value
      - .offset:         52
        .size:           4
        .value_kind:     by_value
      - .offset:         56
        .size:           4
        .value_kind:     by_value
      - .offset:         64
        .size:           4
        .value_kind:     hidden_block_count_x
      - .offset:         68
        .size:           4
        .value_kind:     hidden_block_count_y
      - .offset:         72
        .size:           4
        .value_kind:     hidden_block_count_z
      - .offset:         76
        .size:           2
        .value_kind:     hidden_group_size_x
      - .offset:         78
        .size:           2
        .value_kind:     hidden_group_size_y
      - .offset:         80
        .size:           2
        .value_kind:     hidden_group_size_z
      - .offset:         82
        .size:           2
        .value_kind:     hidden_remainder_x
      - .offset:         84
        .size:           2
        .value_kind:     hidden_remainder_y
      - .offset:         86
        .size:           2
        .value_kind:     hidden_remainder_z
      - .offset:         104
        .size:           8
        .value_kind:     hidden_global_offset_x
      - .offset:         112
        .size:           8
        .value_kind:     hidden_global_offset_y
      - .offset:         120
        .size:           8
        .value_kind:     hidden_global_offset_z
      - .offset:         128
        .size:           2
        .value_kind:     hidden_grid_dims
    .group_segment_fixed_size: 132
    .kernarg_segment_align: 8
    .kernarg_segment_size: 320
    .language:       OpenCL C
    .language_version:
      - 2
      - 0
    .max_flat_workgroup_size: 1024
    .name:           _ZN4vllm42fused_add_rms_norm_static_fp8_quant_kernelIN3c104HalfELi8ENS1_13Float8_e4m3fnEEENSt9enable_ifIXaagtT0_Li0Esr12_typeConvertIT_EE6existsEvE4typeEPT1_PS5_iSA_PKS5_PKffii
    .private_segment_fixed_size: 0
    .sgpr_count:     23
    .sgpr_spill_count: 0
    .symbol:         _ZN4vllm42fused_add_rms_norm_static_fp8_quant_kernelIN3c104HalfELi8ENS1_13Float8_e4m3fnEEENSt9enable_ifIXaagtT0_Li0Esr12_typeConvertIT_EE6existsEvE4typeEPT1_PS5_iSA_PKS5_PKffii.kd
    .uniform_work_group_size: 1
    .uses_dynamic_stack: false
    .vgpr_count:     30
    .vgpr_spill_count: 0
    .wavefront_size: 32
    .workgroup_processor_mode: 1
  - .args:
      - .actual_access:  write_only
        .address_space:  global
        .offset:         0
        .size:           8
        .value_kind:     global_buffer
      - .actual_access:  read_only
        .address_space:  global
        .offset:         8
        .size:           8
        .value_kind:     global_buffer
      - .offset:         16
        .size:           4
        .value_kind:     by_value
      - .address_space:  global
        .offset:         24
        .size:           8
        .value_kind:     global_buffer
      - .actual_access:  read_only
        .address_space:  global
        .offset:         32
        .size:           8
        .value_kind:     global_buffer
      - .actual_access:  read_only
        .address_space:  global
        .offset:         40
        .size:           8
        .value_kind:     global_buffer
      - .offset:         48
        .size:           4
        .value_kind:     by_value
      - .offset:         52
        .size:           4
        .value_kind:     by_value
      - .offset:         56
        .size:           4
        .value_kind:     by_value
      - .offset:         64
        .size:           4
        .value_kind:     hidden_block_count_x
      - .offset:         68
        .size:           4
        .value_kind:     hidden_block_count_y
      - .offset:         72
        .size:           4
        .value_kind:     hidden_block_count_z
      - .offset:         76
        .size:           2
        .value_kind:     hidden_group_size_x
      - .offset:         78
        .size:           2
        .value_kind:     hidden_group_size_y
      - .offset:         80
        .size:           2
        .value_kind:     hidden_group_size_z
      - .offset:         82
        .size:           2
        .value_kind:     hidden_remainder_x
      - .offset:         84
        .size:           2
        .value_kind:     hidden_remainder_y
      - .offset:         86
        .size:           2
        .value_kind:     hidden_remainder_z
      - .offset:         104
        .size:           8
        .value_kind:     hidden_global_offset_x
      - .offset:         112
        .size:           8
        .value_kind:     hidden_global_offset_y
      - .offset:         120
        .size:           8
        .value_kind:     hidden_global_offset_z
      - .offset:         128
        .size:           2
        .value_kind:     hidden_grid_dims
    .group_segment_fixed_size: 132
    .kernarg_segment_align: 8
    .kernarg_segment_size: 320
    .language:       OpenCL C
    .language_version:
      - 2
      - 0
    .max_flat_workgroup_size: 1024
    .name:           _ZN4vllm42fused_add_rms_norm_static_fp8_quant_kernelIN3c104HalfELi8ENS1_15Float8_e4m3fnuzEEENSt9enable_ifIXaagtT0_Li0Esr12_typeConvertIT_EE6existsEvE4typeEPT1_PS5_iSA_PKS5_PKffii
    .private_segment_fixed_size: 0
    .sgpr_count:     23
    .sgpr_spill_count: 0
    .symbol:         _ZN4vllm42fused_add_rms_norm_static_fp8_quant_kernelIN3c104HalfELi8ENS1_15Float8_e4m3fnuzEEENSt9enable_ifIXaagtT0_Li0Esr12_typeConvertIT_EE6existsEvE4typeEPT1_PS5_iSA_PKS5_PKffii.kd
    .uniform_work_group_size: 1
    .uses_dynamic_stack: false
    .vgpr_count:     29
    .vgpr_spill_count: 0
    .wavefront_size: 32
    .workgroup_processor_mode: 1
  - .args:
      - .actual_access:  write_only
        .address_space:  global
        .offset:         0
        .size:           8
        .value_kind:     global_buffer
      - .actual_access:  read_only
        .address_space:  global
        .offset:         8
        .size:           8
        .value_kind:     global_buffer
      - .offset:         16
        .size:           4
        .value_kind:     by_value
      - .address_space:  global
        .offset:         24
        .size:           8
        .value_kind:     global_buffer
      - .actual_access:  read_only
        .address_space:  global
        .offset:         32
        .size:           8
        .value_kind:     global_buffer
      - .actual_access:  read_only
        .address_space:  global
        .offset:         40
        .size:           8
        .value_kind:     global_buffer
      - .offset:         48
        .size:           4
        .value_kind:     by_value
      - .offset:         52
        .size:           4
        .value_kind:     by_value
      - .offset:         56
        .size:           4
        .value_kind:     by_value
      - .offset:         64
        .size:           4
        .value_kind:     hidden_block_count_x
      - .offset:         68
        .size:           4
        .value_kind:     hidden_block_count_y
      - .offset:         72
        .size:           4
        .value_kind:     hidden_block_count_z
      - .offset:         76
        .size:           2
        .value_kind:     hidden_group_size_x
      - .offset:         78
        .size:           2
        .value_kind:     hidden_group_size_y
      - .offset:         80
        .size:           2
        .value_kind:     hidden_group_size_z
      - .offset:         82
        .size:           2
        .value_kind:     hidden_remainder_x
      - .offset:         84
        .size:           2
        .value_kind:     hidden_remainder_y
      - .offset:         86
        .size:           2
        .value_kind:     hidden_remainder_z
      - .offset:         104
        .size:           8
        .value_kind:     hidden_global_offset_x
      - .offset:         112
        .size:           8
        .value_kind:     hidden_global_offset_y
      - .offset:         120
        .size:           8
        .value_kind:     hidden_global_offset_z
      - .offset:         128
        .size:           2
        .value_kind:     hidden_grid_dims
    .group_segment_fixed_size: 132
    .kernarg_segment_align: 8
    .kernarg_segment_size: 320
    .language:       OpenCL C
    .language_version:
      - 2
      - 0
    .max_flat_workgroup_size: 1024
    .name:           _ZN4vllm42fused_add_rms_norm_static_fp8_quant_kernelIN3c108BFloat16ELi8ENS1_13Float8_e4m3fnEEENSt9enable_ifIXaagtT0_Li0Esr12_typeConvertIT_EE6existsEvE4typeEPT1_PS5_iSA_PKS5_PKffii
    .private_segment_fixed_size: 0
    .sgpr_count:     23
    .sgpr_spill_count: 0
    .symbol:         _ZN4vllm42fused_add_rms_norm_static_fp8_quant_kernelIN3c108BFloat16ELi8ENS1_13Float8_e4m3fnEEENSt9enable_ifIXaagtT0_Li0Esr12_typeConvertIT_EE6existsEvE4typeEPT1_PS5_iSA_PKS5_PKffii.kd
    .uniform_work_group_size: 1
    .uses_dynamic_stack: false
    .vgpr_count:     30
    .vgpr_spill_count: 0
    .wavefront_size: 32
    .workgroup_processor_mode: 1
  - .args:
      - .actual_access:  write_only
        .address_space:  global
        .offset:         0
        .size:           8
        .value_kind:     global_buffer
      - .actual_access:  read_only
        .address_space:  global
        .offset:         8
        .size:           8
        .value_kind:     global_buffer
      - .offset:         16
        .size:           4
        .value_kind:     by_value
      - .address_space:  global
        .offset:         24
        .size:           8
        .value_kind:     global_buffer
      - .actual_access:  read_only
        .address_space:  global
        .offset:         32
        .size:           8
        .value_kind:     global_buffer
      - .actual_access:  read_only
        .address_space:  global
        .offset:         40
        .size:           8
        .value_kind:     global_buffer
      - .offset:         48
        .size:           4
        .value_kind:     by_value
      - .offset:         52
        .size:           4
        .value_kind:     by_value
      - .offset:         56
        .size:           4
        .value_kind:     by_value
      - .offset:         64
        .size:           4
        .value_kind:     hidden_block_count_x
      - .offset:         68
        .size:           4
        .value_kind:     hidden_block_count_y
      - .offset:         72
        .size:           4
        .value_kind:     hidden_block_count_z
      - .offset:         76
        .size:           2
        .value_kind:     hidden_group_size_x
      - .offset:         78
        .size:           2
        .value_kind:     hidden_group_size_y
      - .offset:         80
        .size:           2
        .value_kind:     hidden_group_size_z
      - .offset:         82
        .size:           2
        .value_kind:     hidden_remainder_x
      - .offset:         84
        .size:           2
        .value_kind:     hidden_remainder_y
      - .offset:         86
        .size:           2
        .value_kind:     hidden_remainder_z
      - .offset:         104
        .size:           8
        .value_kind:     hidden_global_offset_x
      - .offset:         112
        .size:           8
        .value_kind:     hidden_global_offset_y
      - .offset:         120
        .size:           8
        .value_kind:     hidden_global_offset_z
      - .offset:         128
        .size:           2
        .value_kind:     hidden_grid_dims
    .group_segment_fixed_size: 132
    .kernarg_segment_align: 8
    .kernarg_segment_size: 320
    .language:       OpenCL C
    .language_version:
      - 2
      - 0
    .max_flat_workgroup_size: 1024
    .name:           _ZN4vllm42fused_add_rms_norm_static_fp8_quant_kernelIN3c108BFloat16ELi8ENS1_15Float8_e4m3fnuzEEENSt9enable_ifIXaagtT0_Li0Esr12_typeConvertIT_EE6existsEvE4typeEPT1_PS5_iSA_PKS5_PKffii
    .private_segment_fixed_size: 0
    .sgpr_count:     23
    .sgpr_spill_count: 0
    .symbol:         _ZN4vllm42fused_add_rms_norm_static_fp8_quant_kernelIN3c108BFloat16ELi8ENS1_15Float8_e4m3fnuzEEENSt9enable_ifIXaagtT0_Li0Esr12_typeConvertIT_EE6existsEvE4typeEPT1_PS5_iSA_PKS5_PKffii.kd
    .uniform_work_group_size: 1
    .uses_dynamic_stack: false
    .vgpr_count:     29
    .vgpr_spill_count: 0
    .wavefront_size: 32
    .workgroup_processor_mode: 1
  - .args:
      - .actual_access:  write_only
        .address_space:  global
        .offset:         0
        .size:           8
        .value_kind:     global_buffer
      - .actual_access:  read_only
        .address_space:  global
        .offset:         8
        .size:           8
        .value_kind:     global_buffer
      - .offset:         16
        .size:           4
        .value_kind:     by_value
      - .address_space:  global
        .offset:         24
        .size:           8
        .value_kind:     global_buffer
      - .actual_access:  read_only
        .address_space:  global
        .offset:         32
        .size:           8
        .value_kind:     global_buffer
      - .actual_access:  read_only
        .address_space:  global
        .offset:         40
        .size:           8
        .value_kind:     global_buffer
      - .offset:         48
        .size:           4
        .value_kind:     by_value
      - .offset:         52
        .size:           4
        .value_kind:     by_value
      - .offset:         56
        .size:           4
        .value_kind:     by_value
      - .offset:         64
        .size:           4
        .value_kind:     hidden_block_count_x
      - .offset:         68
        .size:           4
        .value_kind:     hidden_block_count_y
      - .offset:         72
        .size:           4
        .value_kind:     hidden_block_count_z
      - .offset:         76
        .size:           2
        .value_kind:     hidden_group_size_x
      - .offset:         78
        .size:           2
        .value_kind:     hidden_group_size_y
      - .offset:         80
        .size:           2
        .value_kind:     hidden_group_size_z
      - .offset:         82
        .size:           2
        .value_kind:     hidden_remainder_x
      - .offset:         84
        .size:           2
        .value_kind:     hidden_remainder_y
      - .offset:         86
        .size:           2
        .value_kind:     hidden_remainder_z
      - .offset:         104
        .size:           8
        .value_kind:     hidden_global_offset_x
      - .offset:         112
        .size:           8
        .value_kind:     hidden_global_offset_y
      - .offset:         120
        .size:           8
        .value_kind:     hidden_global_offset_z
      - .offset:         128
        .size:           2
        .value_kind:     hidden_grid_dims
    .group_segment_fixed_size: 132
    .kernarg_segment_align: 8
    .kernarg_segment_size: 320
    .language:       OpenCL C
    .language_version:
      - 2
      - 0
    .max_flat_workgroup_size: 1024
    .name:           _ZN4vllm42fused_add_rms_norm_static_fp8_quant_kernelIfLi0EN3c1013Float8_e4m3fnEEENSt9enable_ifIXooeqT0_Li0Entsr12_typeConvertIT_EE6existsEvE4typeEPT1_PS4_iS9_PKS4_PKffii
    .private_segment_fixed_size: 0
    .sgpr_count:     21
    .sgpr_spill_count: 0
    .symbol:         _ZN4vllm42fused_add_rms_norm_static_fp8_quant_kernelIfLi0EN3c1013Float8_e4m3fnEEENSt9enable_ifIXooeqT0_Li0Entsr12_typeConvertIT_EE6existsEvE4typeEPT1_PS4_iS9_PKS4_PKffii.kd
    .uniform_work_group_size: 1
    .uses_dynamic_stack: false
    .vgpr_count:     18
    .vgpr_spill_count: 0
    .wavefront_size: 32
    .workgroup_processor_mode: 1
  - .args:
      - .actual_access:  write_only
        .address_space:  global
        .offset:         0
        .size:           8
        .value_kind:     global_buffer
      - .actual_access:  read_only
        .address_space:  global
        .offset:         8
        .size:           8
        .value_kind:     global_buffer
      - .offset:         16
        .size:           4
        .value_kind:     by_value
      - .address_space:  global
        .offset:         24
        .size:           8
        .value_kind:     global_buffer
      - .actual_access:  read_only
        .address_space:  global
        .offset:         32
        .size:           8
        .value_kind:     global_buffer
      - .actual_access:  read_only
        .address_space:  global
        .offset:         40
        .size:           8
        .value_kind:     global_buffer
      - .offset:         48
        .size:           4
        .value_kind:     by_value
      - .offset:         52
        .size:           4
        .value_kind:     by_value
      - .offset:         56
        .size:           4
        .value_kind:     by_value
      - .offset:         64
        .size:           4
        .value_kind:     hidden_block_count_x
      - .offset:         68
        .size:           4
        .value_kind:     hidden_block_count_y
      - .offset:         72
        .size:           4
        .value_kind:     hidden_block_count_z
      - .offset:         76
        .size:           2
        .value_kind:     hidden_group_size_x
      - .offset:         78
        .size:           2
        .value_kind:     hidden_group_size_y
      - .offset:         80
        .size:           2
        .value_kind:     hidden_group_size_z
      - .offset:         82
        .size:           2
        .value_kind:     hidden_remainder_x
      - .offset:         84
        .size:           2
        .value_kind:     hidden_remainder_y
      - .offset:         86
        .size:           2
        .value_kind:     hidden_remainder_z
      - .offset:         104
        .size:           8
        .value_kind:     hidden_global_offset_x
      - .offset:         112
        .size:           8
        .value_kind:     hidden_global_offset_y
      - .offset:         120
        .size:           8
        .value_kind:     hidden_global_offset_z
      - .offset:         128
        .size:           2
        .value_kind:     hidden_grid_dims
    .group_segment_fixed_size: 132
    .kernarg_segment_align: 8
    .kernarg_segment_size: 320
    .language:       OpenCL C
    .language_version:
      - 2
      - 0
    .max_flat_workgroup_size: 1024
    .name:           _ZN4vllm42fused_add_rms_norm_static_fp8_quant_kernelIfLi0EN3c1015Float8_e4m3fnuzEEENSt9enable_ifIXooeqT0_Li0Entsr12_typeConvertIT_EE6existsEvE4typeEPT1_PS4_iS9_PKS4_PKffii
    .private_segment_fixed_size: 0
    .sgpr_count:     21
    .sgpr_spill_count: 0
    .symbol:         _ZN4vllm42fused_add_rms_norm_static_fp8_quant_kernelIfLi0EN3c1015Float8_e4m3fnuzEEENSt9enable_ifIXooeqT0_Li0Entsr12_typeConvertIT_EE6existsEvE4typeEPT1_PS4_iS9_PKS4_PKffii.kd
    .uniform_work_group_size: 1
    .uses_dynamic_stack: false
    .vgpr_count:     18
    .vgpr_spill_count: 0
    .wavefront_size: 32
    .workgroup_processor_mode: 1
  - .args:
      - .actual_access:  write_only
        .address_space:  global
        .offset:         0
        .size:           8
        .value_kind:     global_buffer
      - .actual_access:  read_only
        .address_space:  global
        .offset:         8
        .size:           8
        .value_kind:     global_buffer
      - .offset:         16
        .size:           4
        .value_kind:     by_value
      - .address_space:  global
        .offset:         24
        .size:           8
        .value_kind:     global_buffer
      - .actual_access:  read_only
        .address_space:  global
        .offset:         32
        .size:           8
        .value_kind:     global_buffer
      - .actual_access:  read_only
        .address_space:  global
        .offset:         40
        .size:           8
        .value_kind:     global_buffer
      - .offset:         48
        .size:           4
        .value_kind:     by_value
      - .offset:         52
        .size:           4
        .value_kind:     by_value
      - .offset:         56
        .size:           4
        .value_kind:     by_value
      - .offset:         64
        .size:           4
        .value_kind:     hidden_block_count_x
      - .offset:         68
        .size:           4
        .value_kind:     hidden_block_count_y
      - .offset:         72
        .size:           4
        .value_kind:     hidden_block_count_z
      - .offset:         76
        .size:           2
        .value_kind:     hidden_group_size_x
      - .offset:         78
        .size:           2
        .value_kind:     hidden_group_size_y
      - .offset:         80
        .size:           2
        .value_kind:     hidden_group_size_z
      - .offset:         82
        .size:           2
        .value_kind:     hidden_remainder_x
      - .offset:         84
        .size:           2
        .value_kind:     hidden_remainder_y
      - .offset:         86
        .size:           2
        .value_kind:     hidden_remainder_z
      - .offset:         104
        .size:           8
        .value_kind:     hidden_global_offset_x
      - .offset:         112
        .size:           8
        .value_kind:     hidden_global_offset_y
      - .offset:         120
        .size:           8
        .value_kind:     hidden_global_offset_z
      - .offset:         128
        .size:           2
        .value_kind:     hidden_grid_dims
    .group_segment_fixed_size: 132
    .kernarg_segment_align: 8
    .kernarg_segment_size: 320
    .language:       OpenCL C
    .language_version:
      - 2
      - 0
    .max_flat_workgroup_size: 1024
    .name:           _ZN4vllm42fused_add_rms_norm_static_fp8_quant_kernelIN3c104HalfELi0ENS1_13Float8_e4m3fnEEENSt9enable_ifIXooeqT0_Li0Entsr12_typeConvertIT_EE6existsEvE4typeEPT1_PS5_iSA_PKS5_PKffii
    .private_segment_fixed_size: 0
    .sgpr_count:     21
    .sgpr_spill_count: 0
    .symbol:         _ZN4vllm42fused_add_rms_norm_static_fp8_quant_kernelIN3c104HalfELi0ENS1_13Float8_e4m3fnEEENSt9enable_ifIXooeqT0_Li0Entsr12_typeConvertIT_EE6existsEvE4typeEPT1_PS5_iSA_PKS5_PKffii.kd
    .uniform_work_group_size: 1
    .uses_dynamic_stack: false
    .vgpr_count:     18
    .vgpr_spill_count: 0
    .wavefront_size: 32
    .workgroup_processor_mode: 1
  - .args:
      - .actual_access:  write_only
        .address_space:  global
        .offset:         0
        .size:           8
        .value_kind:     global_buffer
      - .actual_access:  read_only
        .address_space:  global
        .offset:         8
        .size:           8
        .value_kind:     global_buffer
      - .offset:         16
        .size:           4
        .value_kind:     by_value
      - .address_space:  global
        .offset:         24
        .size:           8
        .value_kind:     global_buffer
      - .actual_access:  read_only
        .address_space:  global
        .offset:         32
        .size:           8
        .value_kind:     global_buffer
      - .actual_access:  read_only
        .address_space:  global
        .offset:         40
        .size:           8
        .value_kind:     global_buffer
      - .offset:         48
        .size:           4
        .value_kind:     by_value
      - .offset:         52
        .size:           4
        .value_kind:     by_value
      - .offset:         56
        .size:           4
        .value_kind:     by_value
      - .offset:         64
        .size:           4
        .value_kind:     hidden_block_count_x
      - .offset:         68
        .size:           4
        .value_kind:     hidden_block_count_y
      - .offset:         72
        .size:           4
        .value_kind:     hidden_block_count_z
      - .offset:         76
        .size:           2
        .value_kind:     hidden_group_size_x
      - .offset:         78
        .size:           2
        .value_kind:     hidden_group_size_y
      - .offset:         80
        .size:           2
        .value_kind:     hidden_group_size_z
      - .offset:         82
        .size:           2
        .value_kind:     hidden_remainder_x
      - .offset:         84
        .size:           2
        .value_kind:     hidden_remainder_y
      - .offset:         86
        .size:           2
        .value_kind:     hidden_remainder_z
      - .offset:         104
        .size:           8
        .value_kind:     hidden_global_offset_x
      - .offset:         112
        .size:           8
        .value_kind:     hidden_global_offset_y
      - .offset:         120
        .size:           8
        .value_kind:     hidden_global_offset_z
      - .offset:         128
        .size:           2
        .value_kind:     hidden_grid_dims
    .group_segment_fixed_size: 132
    .kernarg_segment_align: 8
    .kernarg_segment_size: 320
    .language:       OpenCL C
    .language_version:
      - 2
      - 0
    .max_flat_workgroup_size: 1024
    .name:           _ZN4vllm42fused_add_rms_norm_static_fp8_quant_kernelIN3c104HalfELi0ENS1_15Float8_e4m3fnuzEEENSt9enable_ifIXooeqT0_Li0Entsr12_typeConvertIT_EE6existsEvE4typeEPT1_PS5_iSA_PKS5_PKffii
    .private_segment_fixed_size: 0
    .sgpr_count:     21
    .sgpr_spill_count: 0
    .symbol:         _ZN4vllm42fused_add_rms_norm_static_fp8_quant_kernelIN3c104HalfELi0ENS1_15Float8_e4m3fnuzEEENSt9enable_ifIXooeqT0_Li0Entsr12_typeConvertIT_EE6existsEvE4typeEPT1_PS5_iSA_PKS5_PKffii.kd
    .uniform_work_group_size: 1
    .uses_dynamic_stack: false
    .vgpr_count:     18
    .vgpr_spill_count: 0
    .wavefront_size: 32
    .workgroup_processor_mode: 1
  - .args:
      - .actual_access:  write_only
        .address_space:  global
        .offset:         0
        .size:           8
        .value_kind:     global_buffer
      - .actual_access:  read_only
        .address_space:  global
        .offset:         8
        .size:           8
        .value_kind:     global_buffer
      - .offset:         16
        .size:           4
        .value_kind:     by_value
      - .address_space:  global
        .offset:         24
        .size:           8
        .value_kind:     global_buffer
      - .actual_access:  read_only
        .address_space:  global
        .offset:         32
        .size:           8
        .value_kind:     global_buffer
      - .actual_access:  read_only
        .address_space:  global
        .offset:         40
        .size:           8
        .value_kind:     global_buffer
      - .offset:         48
        .size:           4
        .value_kind:     by_value
      - .offset:         52
        .size:           4
        .value_kind:     by_value
      - .offset:         56
        .size:           4
        .value_kind:     by_value
      - .offset:         64
        .size:           4
        .value_kind:     hidden_block_count_x
      - .offset:         68
        .size:           4
        .value_kind:     hidden_block_count_y
      - .offset:         72
        .size:           4
        .value_kind:     hidden_block_count_z
      - .offset:         76
        .size:           2
        .value_kind:     hidden_group_size_x
      - .offset:         78
        .size:           2
        .value_kind:     hidden_group_size_y
      - .offset:         80
        .size:           2
        .value_kind:     hidden_group_size_z
      - .offset:         82
        .size:           2
        .value_kind:     hidden_remainder_x
      - .offset:         84
        .size:           2
        .value_kind:     hidden_remainder_y
      - .offset:         86
        .size:           2
        .value_kind:     hidden_remainder_z
      - .offset:         104
        .size:           8
        .value_kind:     hidden_global_offset_x
      - .offset:         112
        .size:           8
        .value_kind:     hidden_global_offset_y
      - .offset:         120
        .size:           8
        .value_kind:     hidden_global_offset_z
      - .offset:         128
        .size:           2
        .value_kind:     hidden_grid_dims
    .group_segment_fixed_size: 132
    .kernarg_segment_align: 8
    .kernarg_segment_size: 320
    .language:       OpenCL C
    .language_version:
      - 2
      - 0
    .max_flat_workgroup_size: 1024
    .name:           _ZN4vllm42fused_add_rms_norm_static_fp8_quant_kernelIN3c108BFloat16ELi0ENS1_13Float8_e4m3fnEEENSt9enable_ifIXooeqT0_Li0Entsr12_typeConvertIT_EE6existsEvE4typeEPT1_PS5_iSA_PKS5_PKffii
    .private_segment_fixed_size: 0
    .sgpr_count:     21
    .sgpr_spill_count: 0
    .symbol:         _ZN4vllm42fused_add_rms_norm_static_fp8_quant_kernelIN3c108BFloat16ELi0ENS1_13Float8_e4m3fnEEENSt9enable_ifIXooeqT0_Li0Entsr12_typeConvertIT_EE6existsEvE4typeEPT1_PS5_iSA_PKS5_PKffii.kd
    .uniform_work_group_size: 1
    .uses_dynamic_stack: false
    .vgpr_count:     18
    .vgpr_spill_count: 0
    .wavefront_size: 32
    .workgroup_processor_mode: 1
  - .args:
      - .actual_access:  write_only
        .address_space:  global
        .offset:         0
        .size:           8
        .value_kind:     global_buffer
      - .actual_access:  read_only
        .address_space:  global
        .offset:         8
        .size:           8
        .value_kind:     global_buffer
      - .offset:         16
        .size:           4
        .value_kind:     by_value
      - .address_space:  global
        .offset:         24
        .size:           8
        .value_kind:     global_buffer
      - .actual_access:  read_only
        .address_space:  global
        .offset:         32
        .size:           8
        .value_kind:     global_buffer
      - .actual_access:  read_only
        .address_space:  global
        .offset:         40
        .size:           8
        .value_kind:     global_buffer
      - .offset:         48
        .size:           4
        .value_kind:     by_value
      - .offset:         52
        .size:           4
        .value_kind:     by_value
      - .offset:         56
        .size:           4
        .value_kind:     by_value
      - .offset:         64
        .size:           4
        .value_kind:     hidden_block_count_x
      - .offset:         68
        .size:           4
        .value_kind:     hidden_block_count_y
      - .offset:         72
        .size:           4
        .value_kind:     hidden_block_count_z
      - .offset:         76
        .size:           2
        .value_kind:     hidden_group_size_x
      - .offset:         78
        .size:           2
        .value_kind:     hidden_group_size_y
      - .offset:         80
        .size:           2
        .value_kind:     hidden_group_size_z
      - .offset:         82
        .size:           2
        .value_kind:     hidden_remainder_x
      - .offset:         84
        .size:           2
        .value_kind:     hidden_remainder_y
      - .offset:         86
        .size:           2
        .value_kind:     hidden_remainder_z
      - .offset:         104
        .size:           8
        .value_kind:     hidden_global_offset_x
      - .offset:         112
        .size:           8
        .value_kind:     hidden_global_offset_y
      - .offset:         120
        .size:           8
        .value_kind:     hidden_global_offset_z
      - .offset:         128
        .size:           2
        .value_kind:     hidden_grid_dims
    .group_segment_fixed_size: 132
    .kernarg_segment_align: 8
    .kernarg_segment_size: 320
    .language:       OpenCL C
    .language_version:
      - 2
      - 0
    .max_flat_workgroup_size: 1024
    .name:           _ZN4vllm42fused_add_rms_norm_static_fp8_quant_kernelIN3c108BFloat16ELi0ENS1_15Float8_e4m3fnuzEEENSt9enable_ifIXooeqT0_Li0Entsr12_typeConvertIT_EE6existsEvE4typeEPT1_PS5_iSA_PKS5_PKffii
    .private_segment_fixed_size: 0
    .sgpr_count:     21
    .sgpr_spill_count: 0
    .symbol:         _ZN4vllm42fused_add_rms_norm_static_fp8_quant_kernelIN3c108BFloat16ELi0ENS1_15Float8_e4m3fnuzEEENSt9enable_ifIXooeqT0_Li0Entsr12_typeConvertIT_EE6existsEvE4typeEPT1_PS5_iSA_PKS5_PKffii.kd
    .uniform_work_group_size: 1
    .uses_dynamic_stack: false
    .vgpr_count:     18
    .vgpr_spill_count: 0
    .wavefront_size: 32
    .workgroup_processor_mode: 1
amdhsa.target:   amdgcn-amd-amdhsa--gfx1100
amdhsa.version:
  - 1
  - 2
...

	.end_amdgpu_metadata
